;; amdgpu-corpus repo=ROCm/rocFFT kind=compiled arch=gfx950 opt=O3
	.text
	.amdgcn_target "amdgcn-amd-amdhsa--gfx950"
	.amdhsa_code_object_version 6
	.protected	bluestein_single_back_len1872_dim1_sp_op_CI_CI ; -- Begin function bluestein_single_back_len1872_dim1_sp_op_CI_CI
	.globl	bluestein_single_back_len1872_dim1_sp_op_CI_CI
	.p2align	8
	.type	bluestein_single_back_len1872_dim1_sp_op_CI_CI,@function
bluestein_single_back_len1872_dim1_sp_op_CI_CI: ; @bluestein_single_back_len1872_dim1_sp_op_CI_CI
; %bb.0:
	s_load_dwordx4 s[8:11], s[0:1], 0x28
	v_mul_u32_u24_e32 v1, 0x1a5, v0
	v_mov_b32_e32 v61, 0
	v_add_u32_sdwa v62, s2, v1 dst_sel:DWORD dst_unused:UNUSED_PAD src0_sel:DWORD src1_sel:WORD_1
	v_mov_b32_e32 v63, v61
	s_waitcnt lgkmcnt(0)
	v_cmp_gt_u64_e32 vcc, s[8:9], v[62:63]
	s_and_saveexec_b64 s[2:3], vcc
	s_cbranch_execz .LBB0_15
; %bb.1:
	s_load_dwordx2 s[8:9], s[0:1], 0x0
	s_load_dwordx2 s[12:13], s[0:1], 0x38
	s_movk_i32 s2, 0x9c
	v_mul_lo_u16_sdwa v1, v1, s2 dst_sel:DWORD dst_unused:UNUSED_PAD src0_sel:WORD_1 src1_sel:DWORD
	v_sub_u16_e32 v60, v0, v1
	s_movk_i32 s2, 0x90
	v_cmp_gt_u16_e64 s[2:3], s2, v60
	v_lshlrev_b32_e32 v64, 3, v60
	s_and_saveexec_b64 s[14:15], s[2:3]
	s_cbranch_execz .LBB0_3
; %bb.2:
	s_load_dwordx2 s[4:5], s[0:1], 0x18
	v_mov_b32_e32 v0, s10
	v_mov_b32_e32 v1, s11
	;; [unrolled: 1-line block ×4, first 2 shown]
	s_waitcnt lgkmcnt(0)
	s_load_dwordx4 s[4:7], s[4:5], 0x0
	s_waitcnt lgkmcnt(0)
	v_mad_u64_u32 v[2:3], s[10:11], s6, v62, 0
	v_mad_u64_u32 v[4:5], s[10:11], s4, v60, 0
	v_mov_b32_e32 v6, v3
	v_mov_b32_e32 v8, v5
	v_mad_u64_u32 v[6:7], s[6:7], s7, v62, v[6:7]
	v_mov_b32_e32 v3, v6
	v_mad_u64_u32 v[6:7], s[6:7], s5, v60, v[8:9]
	v_mov_b32_e32 v5, v6
	v_lshl_add_u64 v[0:1], v[2:3], 3, v[0:1]
	v_lshl_add_u64 v[0:1], v[4:5], 3, v[0:1]
	global_load_dwordx2 v[2:3], v[0:1], off
	v_mad_u64_u32 v[0:1], s[6:7], s4, v52, v[0:1]
	s_mul_i32 s10, s5, 0x480
	v_add_u32_e32 v1, s10, v1
	v_mad_u64_u32 v[6:7], s[6:7], s4, v52, v[0:1]
	v_add_u32_e32 v7, s10, v7
	v_mad_u64_u32 v[14:15], s[6:7], s4, v52, v[6:7]
	;; [unrolled: 2-line block ×3, first 2 shown]
	v_add_u32_e32 v19, s10, v19
	global_load_dwordx2 v[8:9], v64, s[8:9]
	global_load_dwordx2 v[10:11], v64, s[8:9] offset:1152
	global_load_dwordx2 v[12:13], v64, s[8:9] offset:2304
	;; [unrolled: 1-line block ×3, first 2 shown]
	global_load_dwordx2 v[20:21], v[0:1], off
	global_load_dwordx2 v[22:23], v[6:7], off
	;; [unrolled: 1-line block ×4, first 2 shown]
	v_mad_u64_u32 v[6:7], s[6:7], s4, v52, v[18:19]
	v_add_u32_e32 v7, s10, v7
	global_load_dwordx2 v[14:15], v[6:7], off
	v_mad_u64_u32 v[6:7], s[6:7], s4, v52, v[6:7]
	v_lshl_add_u64 v[4:5], s[8:9], 0, v[64:65]
	s_movk_i32 s5, 0x1000
	v_add_u32_e32 v7, s10, v7
	v_add_co_u32_e32 v0, vcc, s5, v4
	global_load_dwordx2 v[18:19], v[6:7], off
	v_mad_u64_u32 v[6:7], s[6:7], s4, v52, v[6:7]
	v_addc_co_u32_e32 v1, vcc, 0, v5, vcc
	v_add_u32_e32 v7, s10, v7
	global_load_dwordx2 v[28:29], v[0:1], off offset:512
	global_load_dwordx2 v[30:31], v[6:7], off
	global_load_dwordx2 v[32:33], v[0:1], off offset:1664
	global_load_dwordx2 v[34:35], v[0:1], off offset:2816
	;; [unrolled: 1-line block ×3, first 2 shown]
	v_mad_u64_u32 v[0:1], s[6:7], s4, v52, v[6:7]
	v_add_u32_e32 v1, s10, v1
	global_load_dwordx2 v[6:7], v[0:1], off
	v_mad_u64_u32 v[0:1], s[6:7], s4, v52, v[0:1]
	s_movk_i32 s5, 0x2000
	v_add_u32_e32 v1, s10, v1
	v_add_co_u32_e32 v38, vcc, s5, v4
	global_load_dwordx2 v[40:41], v[0:1], off
	v_mad_u64_u32 v[0:1], s[6:7], s4, v52, v[0:1]
	v_addc_co_u32_e32 v39, vcc, 0, v5, vcc
	v_add_u32_e32 v1, s10, v1
	s_movk_i32 s5, 0x3000
	global_load_dwordx2 v[42:43], v[38:39], off offset:1024
	global_load_dwordx2 v[44:45], v[0:1], off
	global_load_dwordx2 v[46:47], v[38:39], off offset:2176
	global_load_dwordx2 v[48:49], v[38:39], off offset:3328
	v_mad_u64_u32 v[0:1], s[6:7], s4, v52, v[0:1]
	v_add_co_u32_e32 v4, vcc, s5, v4
	v_add_u32_e32 v1, s10, v1
	s_nop 0
	v_addc_co_u32_e32 v5, vcc, 0, v5, vcc
	global_load_dwordx2 v[38:39], v[0:1], off
	global_load_dwordx2 v[50:51], v[4:5], off offset:384
	v_mad_u64_u32 v[0:1], s[4:5], s4, v52, v[0:1]
	v_add_u32_e32 v1, s10, v1
	global_load_dwordx2 v[52:53], v[0:1], off
	global_load_dwordx2 v[54:55], v[4:5], off offset:1536
	v_add_u32_e32 v4, 0x800, v64
	s_waitcnt vmcnt(24)
	v_mul_f32_e32 v0, v2, v9
	v_fma_f32 v1, v3, v8, -v0
	v_mul_f32_e32 v0, v3, v9
	v_fmac_f32_e32 v0, v2, v8
	s_waitcnt vmcnt(20)
	v_mul_f32_e32 v2, v21, v11
	v_mul_f32_e32 v3, v20, v11
	v_fmac_f32_e32 v2, v20, v10
	v_fma_f32 v3, v21, v10, -v3
	ds_write2_b64 v64, v[0:1], v[2:3] offset1:144
	s_waitcnt vmcnt(19)
	v_mul_f32_e32 v0, v23, v13
	v_mul_f32_e32 v1, v22, v13
	s_waitcnt vmcnt(18)
	v_mul_f32_e32 v2, v25, v17
	v_mul_f32_e32 v3, v24, v17
	v_fmac_f32_e32 v0, v22, v12
	v_fma_f32 v1, v23, v12, -v1
	v_fmac_f32_e32 v2, v24, v16
	v_fma_f32 v3, v25, v16, -v3
	ds_write2_b64 v4, v[0:1], v[2:3] offset0:32 offset1:176
	s_waitcnt vmcnt(14)
	v_mul_f32_e32 v0, v27, v29
	v_mul_f32_e32 v1, v26, v29
	s_waitcnt vmcnt(12)
	v_mul_f32_e32 v2, v15, v33
	v_mul_f32_e32 v3, v14, v33
	v_fmac_f32_e32 v0, v26, v28
	v_fma_f32 v1, v27, v28, -v1
	v_fmac_f32_e32 v2, v14, v32
	v_fma_f32 v3, v15, v32, -v3
	v_add_u32_e32 v4, 0x1000, v64
	ds_write2_b64 v4, v[0:1], v[2:3] offset0:64 offset1:208
	s_waitcnt vmcnt(11)
	v_mul_f32_e32 v0, v19, v35
	v_mul_f32_e32 v1, v18, v35
	s_waitcnt vmcnt(10)
	v_mul_f32_e32 v2, v31, v37
	v_mul_f32_e32 v3, v30, v37
	v_fmac_f32_e32 v0, v18, v34
	v_fma_f32 v1, v19, v34, -v1
	v_fmac_f32_e32 v2, v30, v36
	v_fma_f32 v3, v31, v36, -v3
	v_add_u32_e32 v4, 0x1800, v64
	ds_write2_b64 v4, v[0:1], v[2:3] offset0:96 offset1:240
	v_add_u32_e32 v4, 0x2400, v64
	s_waitcnt vmcnt(7)
	v_mul_f32_e32 v0, v7, v43
	v_mul_f32_e32 v1, v6, v43
	s_waitcnt vmcnt(5)
	v_mul_f32_e32 v2, v41, v47
	v_mul_f32_e32 v3, v40, v47
	v_fmac_f32_e32 v0, v6, v42
	v_fma_f32 v1, v7, v42, -v1
	v_fmac_f32_e32 v2, v40, v46
	v_fma_f32 v3, v41, v46, -v3
	ds_write2_b64 v4, v[0:1], v[2:3] offset1:144
	s_waitcnt vmcnt(4)
	v_mul_f32_e32 v0, v45, v49
	v_mul_f32_e32 v1, v44, v49
	s_waitcnt vmcnt(2)
	v_mul_f32_e32 v2, v39, v51
	v_mul_f32_e32 v3, v38, v51
	v_fmac_f32_e32 v0, v44, v48
	v_fma_f32 v1, v45, v48, -v1
	v_fmac_f32_e32 v2, v38, v50
	v_fma_f32 v3, v39, v50, -v3
	v_add_u32_e32 v4, 0x2c00, v64
	ds_write2_b64 v4, v[0:1], v[2:3] offset0:32 offset1:176
	s_waitcnt vmcnt(0)
	v_mul_f32_e32 v0, v53, v55
	v_mul_f32_e32 v1, v52, v55
	v_fmac_f32_e32 v0, v52, v54
	v_fma_f32 v1, v53, v54, -v1
	ds_write_b64 v64, v[0:1] offset:13824
.LBB0_3:
	s_or_b64 exec, exec, s[14:15]
	s_load_dwordx2 s[4:5], s[0:1], 0x20
	s_load_dwordx2 s[10:11], s[0:1], 0x8
	v_mov_b64_e32 v[0:1], 0
	s_waitcnt lgkmcnt(0)
	s_barrier
	s_waitcnt lgkmcnt(0)
                                        ; implicit-def: $vgpr6
                                        ; implicit-def: $vgpr12
                                        ; implicit-def: $vgpr10
                                        ; implicit-def: $vgpr20
                                        ; implicit-def: $vgpr18
                                        ; implicit-def: $vgpr40
	s_and_saveexec_b64 s[0:1], s[2:3]
	s_cbranch_execz .LBB0_5
; %bb.4:
	v_add_u32_e32 v4, 0x800, v64
	ds_read2_b64 v[16:19], v4 offset0:32 offset1:176
	v_add_u32_e32 v4, 0x1000, v64
	ds_read2_b64 v[8:11], v4 offset0:64 offset1:208
	v_add_u32_e32 v4, 0x1800, v64
	v_add_u32_e32 v12, 0x2400, v64
	;; [unrolled: 1-line block ×3, first 2 shown]
	ds_read2_b64 v[0:3], v64 offset1:144
	ds_read2_b64 v[4:7], v4 offset0:96 offset1:240
	ds_read2_b64 v[12:15], v12 offset1:144
	ds_read2_b64 v[20:23], v20 offset0:32 offset1:176
	ds_read_b64 v[40:41], v64 offset:13824
.LBB0_5:
	s_or_b64 exec, exec, s[0:1]
	s_waitcnt lgkmcnt(0)
	v_pk_add_f32 v[38:39], v[2:3], v[40:41] neg_lo:[0,1] neg_hi:[0,1]
	s_mov_b32 s0, 0xbeedf032
	v_pk_add_f32 v[36:37], v[40:41], v[2:3]
	v_pk_add_f32 v[34:35], v[16:17], v[22:23] neg_lo:[0,1] neg_hi:[0,1]
	s_mov_b32 s16, 0x3f62ad3f
	v_pk_mul_f32 v[42:43], v[38:39], s[0:1] op_sel_hi:[1,0]
	s_mov_b32 s26, 0xbf52af12
	v_pk_add_f32 v[32:33], v[22:23], v[16:17]
	v_pk_fma_f32 v[50:51], v[36:37], s[16:17], v[42:43] op_sel:[0,0,1] op_sel_hi:[1,0,0]
	v_pk_fma_f32 v[52:53], v[36:37], s[16:17], v[42:43] op_sel:[0,0,1] op_sel_hi:[1,0,0] neg_lo:[0,0,1] neg_hi:[0,0,1]
	s_mov_b32 s14, 0x3f116cb1
	v_pk_mul_f32 v[44:45], v[34:35], s[26:27] op_sel_hi:[1,0]
	v_mov_b32_e32 v42, v50
	v_mov_b32_e32 v43, v53
	v_pk_fma_f32 v[54:55], v[32:33], s[14:15], v[44:45] op_sel:[0,0,1] op_sel_hi:[1,0,0]
	v_pk_fma_f32 v[56:57], v[32:33], s[14:15], v[44:45] op_sel:[0,0,1] op_sel_hi:[1,0,0] neg_lo:[0,0,1] neg_hi:[0,0,1]
	v_pk_add_f32 v[30:31], v[18:19], v[20:21] neg_lo:[0,1] neg_hi:[0,1]
	v_pk_add_f32 v[42:43], v[42:43], v[0:1]
	v_mov_b32_e32 v44, v54
	v_mov_b32_e32 v45, v57
	s_mov_b32 s34, 0xbf7e222b
	v_pk_add_f32 v[28:29], v[20:21], v[18:19]
	v_pk_add_f32 v[42:43], v[44:45], v[42:43]
	s_mov_b32 s6, 0x3df6dbef
	v_pk_mul_f32 v[44:45], v[30:31], s[34:35] op_sel_hi:[1,0]
	v_pk_add_f32 v[26:27], v[8:9], v[14:15] neg_lo:[0,1] neg_hi:[0,1]
	v_pk_fma_f32 v[58:59], v[28:29], s[6:7], v[44:45] op_sel:[0,0,1] op_sel_hi:[1,0,0]
	v_pk_fma_f32 v[68:69], v[28:29], s[6:7], v[44:45] op_sel:[0,0,1] op_sel_hi:[1,0,0] neg_lo:[0,0,1] neg_hi:[0,0,1]
	v_mov_b32_e32 v44, v58
	v_mov_b32_e32 v45, v69
	s_mov_b32 s20, 0xbf6f5d39
	v_pk_add_f32 v[24:25], v[14:15], v[8:9]
	v_pk_add_f32 v[42:43], v[44:45], v[42:43]
	s_mov_b32 s18, 0xbeb58ec6
	v_pk_mul_f32 v[44:45], v[26:27], s[20:21] op_sel_hi:[1,0]
	s_mov_b32 s24, 0xbf29c268
	v_pk_fma_f32 v[70:71], v[24:25], s[18:19], v[44:45] op_sel:[0,0,1] op_sel_hi:[1,0,0]
	v_pk_fma_f32 v[72:73], v[24:25], s[18:19], v[44:45] op_sel:[0,0,1] op_sel_hi:[1,0,0] neg_lo:[0,0,1] neg_hi:[0,0,1]
	v_mov_b32_e32 v44, v70
	v_mov_b32_e32 v45, v73
	v_pk_add_f32 v[46:47], v[44:45], v[42:43]
	v_pk_add_f32 v[44:45], v[10:11], v[12:13] neg_lo:[0,1] neg_hi:[0,1]
	s_mov_b32 s22, 0xbf3f9e67
	v_pk_add_f32 v[42:43], v[12:13], v[10:11]
	v_pk_mul_f32 v[48:49], v[44:45], s[24:25] op_sel_hi:[1,0]
	s_mov_b32 s30, 0xbe750f2a
	v_pk_fma_f32 v[74:75], v[42:43], s[22:23], v[48:49] op_sel:[0,0,1] op_sel_hi:[1,0,0]
	v_pk_fma_f32 v[76:77], v[42:43], s[22:23], v[48:49] op_sel:[0,0,1] op_sel_hi:[1,0,0] neg_lo:[0,0,1] neg_hi:[0,0,1]
	v_mov_b32_e32 v48, v74
	v_mov_b32_e32 v49, v77
	v_pk_add_f32 v[66:67], v[48:49], v[46:47]
	v_pk_add_f32 v[48:49], v[4:5], v[6:7] neg_lo:[0,1] neg_hi:[0,1]
	s_mov_b32 s28, 0xbf788fa5
	v_pk_add_f32 v[46:47], v[6:7], v[4:5]
	v_pk_mul_f32 v[80:81], v[48:49], s[30:31] op_sel_hi:[1,0]
	v_mul_lo_u16_e32 v132, 13, v60
	v_pk_fma_f32 v[78:79], v[46:47], s[28:29], v[80:81] op_sel:[0,0,1] op_sel_hi:[1,0,0]
	v_pk_fma_f32 v[80:81], v[46:47], s[28:29], v[80:81] op_sel:[0,0,1] op_sel_hi:[1,0,0] neg_lo:[0,0,1] neg_hi:[0,0,1]
	v_mov_b32_e32 v82, v78
	v_mov_b32_e32 v83, v81
	v_pk_add_f32 v[66:67], v[82:83], v[66:67]
	s_barrier
	s_and_saveexec_b64 s[0:1], s[2:3]
	s_cbranch_execz .LBB0_7
; %bb.6:
	v_pk_add_f32 v[2:3], v[2:3], v[0:1]
	v_mov_b32_e32 v53, v51
	v_pk_add_f32 v[2:3], v[16:17], v[2:3]
	v_mov_b32_e32 v57, v55
	;; [unrolled: 2-line block ×5, first 2 shown]
	v_pk_add_f32 v[2:3], v[4:5], v[2:3]
	v_pk_add_f32 v[4:5], v[52:53], v[0:1]
	;; [unrolled: 1-line block ×11, first 2 shown]
	v_mov_b32_e32 v81, v79
	v_lshlrev_b32_e32 v63, 3, v132
	v_pk_add_f32 v[2:3], v[40:41], v[2:3]
	v_pk_add_f32 v[4:5], v[80:81], v[4:5]
	ds_write2_b64 v63, v[2:3], v[4:5] offset1:1
	v_pk_mul_f32 v[4:5], v[38:39], s[26:27] op_sel_hi:[1,0]
	v_pk_mul_f32 v[8:9], v[34:35], s[20:21] op_sel_hi:[1,0]
	v_pk_fma_f32 v[2:3], v[36:37], s[14:15], v[4:5] op_sel:[0,0,1] op_sel_hi:[1,0,0] neg_lo:[0,0,1] neg_hi:[0,0,1]
	v_pk_fma_f32 v[4:5], v[36:37], s[14:15], v[4:5] op_sel:[0,0,1] op_sel_hi:[1,0,0]
	v_mov_b32_e32 v6, v2
	v_mov_b32_e32 v7, v5
	v_pk_add_f32 v[10:11], v[6:7], v[0:1]
	v_pk_fma_f32 v[6:7], v[32:33], s[18:19], v[8:9] op_sel:[0,0,1] op_sel_hi:[1,0,0] neg_lo:[0,0,1] neg_hi:[0,0,1]
	v_pk_fma_f32 v[8:9], v[32:33], s[18:19], v[8:9] op_sel:[0,0,1] op_sel_hi:[1,0,0]
	v_mov_b32_e32 v12, v6
	v_mov_b32_e32 v13, v9
	v_pk_add_f32 v[14:15], v[12:13], v[10:11]
	v_pk_mul_f32 v[12:13], v[30:31], s[30:31] op_sel_hi:[1,0]
	s_mov_b32 s40, 0x3f29c268
	v_pk_fma_f32 v[10:11], v[28:29], s[28:29], v[12:13] op_sel:[0,0,1] op_sel_hi:[1,0,0] neg_lo:[0,0,1] neg_hi:[0,0,1]
	v_pk_fma_f32 v[12:13], v[28:29], s[28:29], v[12:13] op_sel:[0,0,1] op_sel_hi:[1,0,0]
	v_mov_b32_e32 v16, v10
	v_mov_b32_e32 v17, v13
	v_pk_add_f32 v[18:19], v[16:17], v[14:15]
	v_pk_mul_f32 v[16:17], v[26:27], s[40:41] op_sel_hi:[1,0]
	s_mov_b32 s36, 0x3f7e222b
	;; [unrolled: 7-line block ×3, first 2 shown]
	v_pk_fma_f32 v[18:19], v[42:43], s[6:7], v[20:21] op_sel:[0,0,1] op_sel_hi:[1,0,0] neg_lo:[0,0,1] neg_hi:[0,0,1]
	v_pk_fma_f32 v[20:21], v[42:43], s[6:7], v[20:21] op_sel:[0,0,1] op_sel_hi:[1,0,0]
	v_mov_b32_e32 v40, v18
	v_mov_b32_e32 v41, v21
	v_pk_add_f32 v[50:51], v[40:41], v[22:23]
	v_pk_mul_f32 v[40:41], v[48:49], s[38:39] op_sel_hi:[1,0]
	v_pk_mul_f32 v[54:55], v[34:35], s[30:31] op_sel_hi:[1,0]
	v_pk_fma_f32 v[22:23], v[46:47], s[16:17], v[40:41] op_sel:[0,0,1] op_sel_hi:[1,0,0] neg_lo:[0,0,1] neg_hi:[0,0,1]
	v_pk_fma_f32 v[40:41], v[46:47], s[16:17], v[40:41] op_sel:[0,0,1] op_sel_hi:[1,0,0]
	v_mov_b32_e32 v52, v22
	v_mov_b32_e32 v53, v41
	v_pk_add_f32 v[50:51], v[52:53], v[50:51]
	v_pk_mul_f32 v[52:53], v[38:39], s[34:35] op_sel_hi:[1,0]
	v_pk_fma_f32 v[68:69], v[32:33], s[28:29], v[54:55] op_sel:[0,0,1] op_sel_hi:[1,0,0] neg_lo:[0,0,1] neg_hi:[0,0,1]
	v_pk_fma_f32 v[56:57], v[36:37], s[6:7], v[52:53] op_sel:[0,0,1] op_sel_hi:[1,0,0] neg_lo:[0,0,1] neg_hi:[0,0,1]
	v_pk_fma_f32 v[52:53], v[36:37], s[6:7], v[52:53] op_sel:[0,0,1] op_sel_hi:[1,0,0]
	v_mov_b32_e32 v58, v56
	v_mov_b32_e32 v59, v53
	v_pk_fma_f32 v[54:55], v[32:33], s[28:29], v[54:55] op_sel:[0,0,1] op_sel_hi:[1,0,0]
	v_pk_add_f32 v[58:59], v[58:59], v[0:1]
	v_mov_b32_e32 v70, v68
	v_mov_b32_e32 v71, v55
	s_mov_b32 s42, 0x3f6f5d39
	v_pk_add_f32 v[58:59], v[70:71], v[58:59]
	v_pk_mul_f32 v[70:71], v[30:31], s[42:43] op_sel_hi:[1,0]
	v_pk_mul_f32 v[88:89], v[34:35], s[40:41] op_sel_hi:[1,0]
	v_pk_fma_f32 v[72:73], v[28:29], s[18:19], v[70:71] op_sel:[0,0,1] op_sel_hi:[1,0,0] neg_lo:[0,0,1] neg_hi:[0,0,1]
	v_pk_fma_f32 v[70:71], v[28:29], s[18:19], v[70:71] op_sel:[0,0,1] op_sel_hi:[1,0,0]
	v_mov_b32_e32 v74, v72
	v_mov_b32_e32 v75, v71
	v_pk_add_f32 v[58:59], v[74:75], v[58:59]
	v_pk_mul_f32 v[74:75], v[26:27], s[38:39] op_sel_hi:[1,0]
	v_pk_fma_f32 v[90:91], v[32:33], s[22:23], v[88:89] op_sel:[0,0,1] op_sel_hi:[1,0,0] neg_lo:[0,0,1] neg_hi:[0,0,1]
	v_pk_fma_f32 v[76:77], v[24:25], s[16:17], v[74:75] op_sel:[0,0,1] op_sel_hi:[1,0,0] neg_lo:[0,0,1] neg_hi:[0,0,1]
	v_pk_fma_f32 v[74:75], v[24:25], s[16:17], v[74:75] op_sel:[0,0,1] op_sel_hi:[1,0,0]
	v_mov_b32_e32 v78, v76
	v_mov_b32_e32 v79, v75
	v_pk_add_f32 v[58:59], v[78:79], v[58:59]
	v_pk_mul_f32 v[78:79], v[44:45], s[26:27] op_sel_hi:[1,0]
	v_pk_fma_f32 v[88:89], v[32:33], s[22:23], v[88:89] op_sel:[0,0,1] op_sel_hi:[1,0,0]
	v_pk_fma_f32 v[80:81], v[42:43], s[14:15], v[78:79] op_sel:[0,0,1] op_sel_hi:[1,0,0] neg_lo:[0,0,1] neg_hi:[0,0,1]
	v_pk_fma_f32 v[78:79], v[42:43], s[14:15], v[78:79] op_sel:[0,0,1] op_sel_hi:[1,0,0]
	v_mov_b32_e32 v82, v80
	v_mov_b32_e32 v83, v79
	v_pk_add_f32 v[58:59], v[82:83], v[58:59]
	v_pk_mul_f32 v[82:83], v[48:49], s[24:25] op_sel_hi:[1,0]
	v_mov_b32_e32 v92, v90
	v_pk_fma_f32 v[84:85], v[46:47], s[22:23], v[82:83] op_sel:[0,0,1] op_sel_hi:[1,0,0] neg_lo:[0,0,1] neg_hi:[0,0,1]
	v_pk_fma_f32 v[82:83], v[46:47], s[22:23], v[82:83] op_sel:[0,0,1] op_sel_hi:[1,0,0]
	v_mov_b32_e32 v86, v84
	v_mov_b32_e32 v87, v83
	v_pk_add_f32 v[58:59], v[86:87], v[58:59]
	ds_write2_b64 v63, v[50:51], v[58:59] offset0:2 offset1:3
	v_pk_mul_f32 v[50:51], v[38:39], s[20:21] op_sel_hi:[1,0]
	v_mov_b32_e32 v93, v89
	v_pk_fma_f32 v[58:59], v[36:37], s[18:19], v[50:51] op_sel:[0,0,1] op_sel_hi:[1,0,0] neg_lo:[0,0,1] neg_hi:[0,0,1]
	v_pk_fma_f32 v[50:51], v[36:37], s[18:19], v[50:51] op_sel:[0,0,1] op_sel_hi:[1,0,0]
	v_mov_b32_e32 v86, v58
	v_mov_b32_e32 v87, v51
	v_pk_add_f32 v[86:87], v[86:87], v[0:1]
	s_mov_b32 s40, 0x3f52af12
	v_pk_add_f32 v[86:87], v[92:93], v[86:87]
	v_pk_mul_f32 v[92:93], v[30:31], s[38:39] op_sel_hi:[1,0]
	v_pk_mul_f32 v[114:115], v[34:35], s[36:37] op_sel_hi:[1,0]
	v_pk_fma_f32 v[94:95], v[28:29], s[16:17], v[92:93] op_sel:[0,0,1] op_sel_hi:[1,0,0] neg_lo:[0,0,1] neg_hi:[0,0,1]
	v_pk_fma_f32 v[92:93], v[28:29], s[16:17], v[92:93] op_sel:[0,0,1] op_sel_hi:[1,0,0]
	v_mov_b32_e32 v96, v94
	v_mov_b32_e32 v97, v93
	v_pk_add_f32 v[86:87], v[96:97], v[86:87]
	v_pk_mul_f32 v[96:97], v[26:27], s[34:35] op_sel_hi:[1,0]
	s_mov_b32 s34, 0x3e750f2a
	v_pk_fma_f32 v[98:99], v[24:25], s[6:7], v[96:97] op_sel:[0,0,1] op_sel_hi:[1,0,0] neg_lo:[0,0,1] neg_hi:[0,0,1]
	v_pk_fma_f32 v[96:97], v[24:25], s[6:7], v[96:97] op_sel:[0,0,1] op_sel_hi:[1,0,0]
	v_mov_b32_e32 v100, v98
	v_mov_b32_e32 v101, v97
	v_pk_add_f32 v[86:87], v[100:101], v[86:87]
	v_pk_mul_f32 v[100:101], v[44:45], s[34:35] op_sel_hi:[1,0]
	v_pk_fma_f32 v[116:117], v[32:33], s[6:7], v[114:115] op_sel:[0,0,1] op_sel_hi:[1,0,0] neg_lo:[0,0,1] neg_hi:[0,0,1]
	v_pk_fma_f32 v[102:103], v[42:43], s[28:29], v[100:101] op_sel:[0,0,1] op_sel_hi:[1,0,0] neg_lo:[0,0,1] neg_hi:[0,0,1]
	v_pk_fma_f32 v[100:101], v[42:43], s[28:29], v[100:101] op_sel:[0,0,1] op_sel_hi:[1,0,0]
	v_mov_b32_e32 v104, v102
	v_mov_b32_e32 v105, v101
	v_pk_add_f32 v[86:87], v[104:105], v[86:87]
	v_pk_mul_f32 v[104:105], v[48:49], s[40:41] op_sel_hi:[1,0]
	v_pk_fma_f32 v[114:115], v[32:33], s[6:7], v[114:115] op_sel:[0,0,1] op_sel_hi:[1,0,0]
	v_pk_fma_f32 v[106:107], v[46:47], s[14:15], v[104:105] op_sel:[0,0,1] op_sel_hi:[1,0,0] neg_lo:[0,0,1] neg_hi:[0,0,1]
	v_pk_fma_f32 v[104:105], v[46:47], s[14:15], v[104:105] op_sel:[0,0,1] op_sel_hi:[1,0,0]
	v_mov_b32_e32 v108, v106
	v_mov_b32_e32 v109, v105
	v_pk_add_f32 v[86:87], v[108:109], v[86:87]
	v_pk_mul_f32 v[108:109], v[38:39], s[24:25] op_sel_hi:[1,0]
	v_mov_b32_e32 v118, v116
	v_pk_fma_f32 v[110:111], v[36:37], s[22:23], v[108:109] op_sel:[0,0,1] op_sel_hi:[1,0,0] neg_lo:[0,0,1] neg_hi:[0,0,1]
	v_pk_fma_f32 v[108:109], v[36:37], s[22:23], v[108:109] op_sel:[0,0,1] op_sel_hi:[1,0,0]
	v_mov_b32_e32 v112, v110
	v_mov_b32_e32 v113, v109
	v_pk_add_f32 v[112:113], v[112:113], v[0:1]
	v_mov_b32_e32 v119, v115
	v_pk_add_f32 v[112:113], v[118:119], v[112:113]
	v_pk_mul_f32 v[118:119], v[30:31], s[26:27] op_sel_hi:[1,0]
	v_pk_mul_f32 v[38:39], v[38:39], s[30:31] op_sel_hi:[1,0]
	v_pk_fma_f32 v[120:121], v[28:29], s[14:15], v[118:119] op_sel:[0,0,1] op_sel_hi:[1,0,0] neg_lo:[0,0,1] neg_hi:[0,0,1]
	v_pk_fma_f32 v[118:119], v[28:29], s[14:15], v[118:119] op_sel:[0,0,1] op_sel_hi:[1,0,0]
	v_mov_b32_e32 v122, v120
	v_mov_b32_e32 v123, v119
	v_pk_add_f32 v[112:113], v[122:123], v[112:113]
	v_pk_mul_f32 v[122:123], v[26:27], s[34:35] op_sel_hi:[1,0]
	v_pk_mul_f32 v[34:35], v[34:35], s[38:39] op_sel_hi:[1,0]
	v_pk_fma_f32 v[124:125], v[24:25], s[28:29], v[122:123] op_sel:[0,0,1] op_sel_hi:[1,0,0] neg_lo:[0,0,1] neg_hi:[0,0,1]
	v_pk_fma_f32 v[122:123], v[24:25], s[28:29], v[122:123] op_sel:[0,0,1] op_sel_hi:[1,0,0]
	v_mov_b32_e32 v126, v124
	;; [unrolled: 7-line block ×4, first 2 shown]
	v_mov_b32_e32 v137, v131
	v_pk_add_f32 v[112:113], v[136:137], v[112:113]
	ds_write2_b64 v63, v[86:87], v[112:113] offset0:4 offset1:5
	v_pk_fma_f32 v[86:87], v[36:37], s[28:29], v[38:39] op_sel:[0,0,1] op_sel_hi:[1,0,0] neg_lo:[0,0,1] neg_hi:[0,0,1]
	v_pk_fma_f32 v[36:37], v[36:37], s[28:29], v[38:39] op_sel:[0,0,1] op_sel_hi:[1,0,0]
	v_pk_fma_f32 v[38:39], v[32:33], s[16:17], v[34:35] op_sel:[0,0,1] op_sel_hi:[1,0,0] neg_lo:[0,0,1] neg_hi:[0,0,1]
	v_pk_fma_f32 v[32:33], v[32:33], s[16:17], v[34:35] op_sel:[0,0,1] op_sel_hi:[1,0,0]
	v_mov_b32_e32 v34, v86
	v_mov_b32_e32 v35, v37
	v_pk_add_f32 v[34:35], v[34:35], v[0:1]
	v_mov_b32_e32 v112, v38
	v_mov_b32_e32 v113, v33
	v_pk_add_f32 v[34:35], v[112:113], v[34:35]
	v_pk_fma_f32 v[112:113], v[28:29], s[22:23], v[30:31] op_sel:[0,0,1] op_sel_hi:[1,0,0] neg_lo:[0,0,1] neg_hi:[0,0,1]
	v_pk_fma_f32 v[28:29], v[28:29], s[22:23], v[30:31] op_sel:[0,0,1] op_sel_hi:[1,0,0]
	v_mov_b32_e32 v30, v112
	v_mov_b32_e32 v31, v29
	v_pk_add_f32 v[30:31], v[30:31], v[34:35]
	v_pk_fma_f32 v[34:35], v[24:25], s[14:15], v[26:27] op_sel:[0,0,1] op_sel_hi:[1,0,0] neg_lo:[0,0,1] neg_hi:[0,0,1]
	v_pk_fma_f32 v[24:25], v[24:25], s[14:15], v[26:27] op_sel:[0,0,1] op_sel_hi:[1,0,0]
	v_mov_b32_e32 v26, v34
	v_mov_b32_e32 v27, v25
	v_pk_add_f32 v[26:27], v[26:27], v[30:31]
	v_pk_mul_f32 v[30:31], v[44:45], s[20:21] op_sel_hi:[1,0]
	v_mov_b32_e32 v37, v87
	v_pk_fma_f32 v[44:45], v[42:43], s[18:19], v[30:31] op_sel:[0,0,1] op_sel_hi:[1,0,0] neg_lo:[0,0,1] neg_hi:[0,0,1]
	v_pk_fma_f32 v[30:31], v[42:43], s[18:19], v[30:31] op_sel:[0,0,1] op_sel_hi:[1,0,0]
	v_mov_b32_e32 v33, v39
	v_pk_add_f32 v[36:37], v[36:37], v[0:1]
	v_mov_b32_e32 v42, v44
	v_mov_b32_e32 v43, v31
	v_pk_add_f32 v[32:33], v[32:33], v[36:37]
	v_mov_b32_e32 v29, v113
	v_pk_add_f32 v[26:27], v[42:43], v[26:27]
	v_pk_mul_f32 v[42:43], v[48:49], s[36:37] op_sel_hi:[1,0]
	v_pk_add_f32 v[28:29], v[28:29], v[32:33]
	v_mov_b32_e32 v25, v35
	v_pk_fma_f32 v[48:49], v[46:47], s[6:7], v[42:43] op_sel:[0,0,1] op_sel_hi:[1,0,0] neg_lo:[0,0,1] neg_hi:[0,0,1]
	v_pk_fma_f32 v[42:43], v[46:47], s[6:7], v[42:43] op_sel:[0,0,1] op_sel_hi:[1,0,0]
	v_pk_add_f32 v[24:25], v[24:25], v[28:29]
	v_mov_b32_e32 v31, v45
	v_mov_b32_e32 v46, v48
	;; [unrolled: 1-line block ×3, first 2 shown]
	v_pk_add_f32 v[24:25], v[30:31], v[24:25]
	v_mov_b32_e32 v43, v49
	v_pk_add_f32 v[26:27], v[46:47], v[26:27]
	v_pk_add_f32 v[24:25], v[42:43], v[24:25]
	v_mov_b32_e32 v109, v111
	v_mov_b32_e32 v51, v59
	ds_write2_b64 v63, v[26:27], v[24:25] offset0:6 offset1:7
	v_mov_b32_e32 v115, v117
	v_pk_add_f32 v[24:25], v[108:109], v[0:1]
	v_mov_b32_e32 v89, v91
	v_pk_add_f32 v[26:27], v[50:51], v[0:1]
	v_pk_add_f32 v[24:25], v[114:115], v[24:25]
	v_mov_b32_e32 v119, v121
	v_pk_add_f32 v[26:27], v[88:89], v[26:27]
	v_mov_b32_e32 v93, v95
	v_pk_add_f32 v[24:25], v[118:119], v[24:25]
	v_mov_b32_e32 v123, v125
	v_pk_add_f32 v[26:27], v[92:93], v[26:27]
	v_mov_b32_e32 v97, v99
	v_pk_add_f32 v[24:25], v[122:123], v[24:25]
	v_mov_b32_e32 v127, v129
	v_pk_add_f32 v[26:27], v[96:97], v[26:27]
	v_mov_b32_e32 v101, v103
	v_pk_add_f32 v[24:25], v[126:127], v[24:25]
	v_mov_b32_e32 v131, v135
	v_pk_add_f32 v[26:27], v[100:101], v[26:27]
	v_mov_b32_e32 v105, v107
	v_pk_add_f32 v[24:25], v[130:131], v[24:25]
	v_pk_add_f32 v[26:27], v[104:105], v[26:27]
	v_mov_b32_e32 v53, v57
	v_mov_b32_e32 v5, v3
	ds_write2_b64 v63, v[24:25], v[26:27] offset0:8 offset1:9
	v_pk_add_f32 v[24:25], v[52:53], v[0:1]
	v_mov_b32_e32 v55, v69
	v_pk_add_f32 v[0:1], v[4:5], v[0:1]
	v_mov_b32_e32 v9, v7
	v_pk_add_f32 v[24:25], v[54:55], v[24:25]
	v_mov_b32_e32 v71, v73
	v_pk_add_f32 v[0:1], v[8:9], v[0:1]
	v_mov_b32_e32 v13, v11
	v_pk_add_f32 v[24:25], v[70:71], v[24:25]
	v_mov_b32_e32 v75, v77
	v_pk_add_f32 v[0:1], v[12:13], v[0:1]
	v_mov_b32_e32 v17, v15
	v_pk_add_f32 v[24:25], v[74:75], v[24:25]
	v_mov_b32_e32 v79, v81
	v_pk_add_f32 v[0:1], v[16:17], v[0:1]
	v_mov_b32_e32 v21, v19
	v_pk_add_f32 v[24:25], v[78:79], v[24:25]
	v_mov_b32_e32 v83, v85
	v_pk_add_f32 v[0:1], v[20:21], v[0:1]
	v_mov_b32_e32 v41, v23
	v_pk_add_f32 v[24:25], v[82:83], v[24:25]
	v_pk_add_f32 v[0:1], v[40:41], v[0:1]
	ds_write2_b64 v63, v[24:25], v[0:1] offset0:10 offset1:11
	ds_write_b64 v63, v[66:67] offset:96
.LBB0_7:
	s_or_b64 exec, exec, s[0:1]
	s_mov_b64 s[0:1], 0x138
	v_lshl_add_u64 v[16:17], v[60:61], 0, s[0:1]
	s_mov_b64 s[0:1], 0x1d4
	v_lshl_add_u64 v[0:1], v[60:61], 0, s[0:1]
	s_movk_i32 s14, 0x4ec5
	v_mul_u32_u24_sdwa v2, v0, s14 dst_sel:DWORD dst_unused:UNUSED_PAD src0_sel:WORD_0 src1_sel:DWORD
	v_mul_u32_u24_sdwa v1, v16, s14 dst_sel:DWORD dst_unused:UNUSED_PAD src0_sel:WORD_0 src1_sel:DWORD
	v_lshrrev_b32_e32 v41, 18, v2
	v_lshrrev_b32_e32 v17, 18, v1
	v_mul_lo_u16_e32 v2, 13, v41
	v_mul_lo_u16_e32 v1, 13, v17
	v_sub_u16_e32 v42, v0, v2
	v_sub_u16_e32 v40, v16, v1
	v_lshlrev_b16_e32 v0, 1, v42
	v_lshlrev_b16_e32 v1, 1, v40
	v_lshlrev_b32_e32 v0, 3, v0
	s_load_dwordx4 s[4:7], s[4:5], 0x0
	s_waitcnt lgkmcnt(0)
	s_barrier
	global_load_dwordx4 v[12:15], v0, s[10:11]
	v_lshlrev_b32_e32 v0, 3, v1
	s_mov_b64 s[0:1], 0x9c
	global_load_dwordx4 v[8:11], v0, s[10:11]
	v_lshl_add_u64 v[38:39], v[60:61], 0, s[0:1]
	v_mul_u32_u24_sdwa v0, v38, s14 dst_sel:DWORD dst_unused:UNUSED_PAD src0_sel:WORD_0 src1_sel:DWORD
	v_lshrrev_b32_e32 v39, 18, v0
	v_mul_lo_u16_e32 v0, 13, v39
	v_sub_u16_e32 v43, v38, v0
	v_lshlrev_b16_e32 v0, 1, v43
	v_lshlrev_b32_e32 v0, 3, v0
	global_load_dwordx4 v[4:7], v0, s[10:11]
	s_movk_i32 s0, 0x4f
	v_mul_lo_u16_sdwa v0, v60, s0 dst_sel:DWORD dst_unused:UNUSED_PAD src0_sel:BYTE_0 src1_sel:DWORD
	v_lshrrev_b16_e32 v22, 10, v0
	v_mul_lo_u16_e32 v0, 13, v22
	v_sub_u16_e32 v0, v60, v0
	v_and_b32_e32 v44, 0xff, v0
	v_lshlrev_b32_e32 v0, 4, v44
	global_load_dwordx4 v[0:3], v0, s[10:11]
	v_mov_b32_e32 v18, 3
	v_lshlrev_b32_sdwa v61, v18, v60 dst_sel:DWORD dst_unused:UNUSED_PAD src0_sel:DWORD src1_sel:WORD_0
	v_add_u32_e32 v65, 0x800, v61
	v_add_u32_e32 v79, 0x1c00, v61
	;; [unrolled: 1-line block ×3, first 2 shown]
	ds_read2_b64 v[18:21], v61 offset1:156
	v_add_u32_e32 v81, 0x1200, v61
	v_mul_u32_u24_e32 v45, 39, v22
	ds_read2_b64 v[22:25], v65 offset0:56 offset1:212
	ds_read2_b64 v[26:29], v79 offset0:40 offset1:196
	;; [unrolled: 1-line block ×4, first 2 shown]
	v_mad_legacy_u16 v17, v17, 39, v40
	v_mad_legacy_u16 v40, v41, 39, v42
	v_lshlrev_b32_e32 v134, 3, v40
	v_add_lshl_u32 v137, v45, v44, 3
	v_mad_legacy_u16 v39, v39, 39, v43
	s_mov_b32 s0, 0x3f5db3d7
	s_mov_b32 s1, 0xbf5db3d7
	v_add_u32_e32 v83, 0x2400, v61
	v_lshlrev_b32_e32 v136, 3, v39
	v_lshlrev_b32_e32 v135, 3, v17
	s_mov_b32 s14, 0xa41b
	v_mul_u32_u24_sdwa v17, v38, s14 dst_sel:DWORD dst_unused:UNUSED_PAD src0_sel:WORD_0 src1_sel:DWORD
	v_mov_b32_e32 v77, 0
	s_waitcnt vmcnt(3) lgkmcnt(2)
	v_pk_mul_f32 v[40:41], v[28:29], v[12:13] op_sel:[0,1]
	v_mov_b32_e32 v42, v15
	v_pk_fma_f32 v[48:49], v[28:29], v[12:13], v[40:41] op_sel:[0,0,1] op_sel_hi:[1,1,0] neg_lo:[0,0,1] neg_hi:[0,0,1]
	s_waitcnt vmcnt(2)
	v_pk_mul_f32 v[44:45], v[26:27], v[8:9] op_sel:[0,1]
	v_mov_b32_e32 v46, v11
	v_pk_fma_f32 v[28:29], v[28:29], v[12:13], v[40:41] op_sel:[0,0,1] op_sel_hi:[1,0,0]
	s_waitcnt lgkmcnt(1)
	v_pk_mul_f32 v[40:41], v[32:33], v[42:43] op_sel_hi:[1,0]
	v_pk_fma_f32 v[42:43], v[26:27], v[8:9], v[44:45] op_sel:[0,0,1] op_sel_hi:[1,1,0] neg_lo:[0,0,1] neg_hi:[0,0,1]
	v_pk_fma_f32 v[26:27], v[26:27], v[8:9], v[44:45] op_sel:[0,0,1] op_sel_hi:[1,0,0]
	v_pk_mul_f32 v[44:45], v[30:31], v[46:47] op_sel_hi:[1,0]
	v_mov_b32_e32 v49, v29
	v_pk_fma_f32 v[46:47], v[32:33], v[14:15], v[40:41] op_sel:[0,0,1] op_sel_hi:[1,1,0] neg_lo:[0,0,1] neg_hi:[0,0,1]
	v_pk_fma_f32 v[28:29], v[32:33], v[14:15], v[40:41] op_sel:[0,0,1] op_sel_hi:[1,0,0]
	v_mov_b32_e32 v43, v27
	v_pk_fma_f32 v[32:33], v[30:31], v[10:11], v[44:45] op_sel:[0,0,1] op_sel_hi:[1,1,0] neg_lo:[0,0,1] neg_hi:[0,0,1]
	v_pk_fma_f32 v[26:27], v[30:31], v[10:11], v[44:45] op_sel:[0,0,1] op_sel_hi:[1,0,0]
	v_mov_b32_e32 v47, v29
	v_mov_b32_e32 v33, v27
	v_pk_add_f32 v[26:27], v[48:49], v[46:47]
	v_pk_add_f32 v[28:29], v[48:49], v[46:47] neg_lo:[0,1] neg_hi:[0,1]
	v_pk_fma_f32 v[26:27], v[26:27], 0.5, v[24:25] op_sel_hi:[1,0,1] neg_lo:[1,0,0] neg_hi:[1,0,0]
	v_pk_mul_f32 v[28:29], v[28:29], s[0:1] op_sel_hi:[1,0]
	v_pk_add_f32 v[30:31], v[42:43], v[32:33]
	v_pk_add_f32 v[40:41], v[42:43], v[32:33] neg_lo:[0,1] neg_hi:[0,1]
	v_pk_add_f32 v[44:45], v[26:27], v[28:29] op_sel:[0,1] op_sel_hi:[1,0] neg_lo:[0,1] neg_hi:[0,1]
	v_pk_add_f32 v[50:51], v[26:27], v[28:29] op_sel:[0,1] op_sel_hi:[1,0]
	ds_read2_b64 v[26:29], v83 offset0:96 offset1:252
	v_pk_fma_f32 v[30:31], v[30:31], 0.5, v[22:23] op_sel_hi:[1,0,1] neg_lo:[1,0,0] neg_hi:[1,0,0]
	v_pk_mul_f32 v[40:41], v[40:41], s[0:1] op_sel_hi:[1,0]
	s_waitcnt lgkmcnt(0)
	v_pk_add_f32 v[52:53], v[30:31], v[40:41] op_sel:[0,1] op_sel_hi:[1,0] neg_lo:[0,1] neg_hi:[0,1]
	v_pk_add_f32 v[30:31], v[30:31], v[40:41] op_sel:[0,1] op_sel_hi:[1,0]
	s_waitcnt vmcnt(1)
	v_pk_mul_f32 v[40:41], v[36:37], v[4:5] op_sel:[0,1]
	s_barrier
	v_pk_fma_f32 v[54:55], v[36:37], v[4:5], v[40:41] op_sel:[0,0,1] op_sel_hi:[1,1,0] neg_lo:[0,0,1] neg_hi:[0,0,1]
	v_pk_fma_f32 v[36:37], v[36:37], v[4:5], v[40:41] op_sel:[0,0,1] op_sel_hi:[1,0,0]
	s_nop 0
	v_mov_b32_e32 v36, v7
	v_mov_b32_e32 v55, v37
	v_pk_mul_f32 v[36:37], v[28:29], v[36:37] op_sel_hi:[1,0]
	s_nop 0
	v_pk_fma_f32 v[40:41], v[28:29], v[6:7], v[36:37] op_sel:[0,0,1] op_sel_hi:[1,1,0] neg_lo:[0,0,1] neg_hi:[0,0,1]
	v_pk_fma_f32 v[28:29], v[28:29], v[6:7], v[36:37] op_sel:[0,0,1] op_sel_hi:[1,0,0]
	s_nop 0
	v_mov_b32_e32 v41, v29
	v_pk_add_f32 v[28:29], v[54:55], v[40:41]
	v_pk_add_f32 v[36:37], v[54:55], v[40:41] neg_lo:[0,1] neg_hi:[0,1]
	v_pk_fma_f32 v[28:29], v[28:29], 0.5, v[20:21] op_sel_hi:[1,0,1] neg_lo:[1,0,0] neg_hi:[1,0,0]
	v_pk_mul_f32 v[36:37], v[36:37], s[0:1] op_sel_hi:[1,0]
	s_nop 0
	v_pk_add_f32 v[56:57], v[28:29], v[36:37] op_sel:[0,1] op_sel_hi:[1,0] neg_lo:[0,1] neg_hi:[0,1]
	v_pk_add_f32 v[28:29], v[28:29], v[36:37] op_sel:[0,1] op_sel_hi:[1,0]
	s_waitcnt vmcnt(0)
	v_pk_mul_f32 v[36:37], v[34:35], v[0:1] op_sel:[0,1]
	s_nop 0
	v_pk_fma_f32 v[58:59], v[34:35], v[0:1], v[36:37] op_sel:[0,0,1] op_sel_hi:[1,1,0] neg_lo:[0,0,1] neg_hi:[0,0,1]
	v_pk_fma_f32 v[34:35], v[34:35], v[0:1], v[36:37] op_sel:[0,0,1] op_sel_hi:[1,0,0]
	s_nop 0
	v_mov_b32_e32 v34, v3
	v_mov_b32_e32 v59, v35
	v_pk_mul_f32 v[34:35], v[26:27], v[34:35] op_sel_hi:[1,0]
	s_nop 0
	v_pk_fma_f32 v[36:37], v[26:27], v[2:3], v[34:35] op_sel:[0,0,1] op_sel_hi:[1,1,0] neg_lo:[0,0,1] neg_hi:[0,0,1]
	v_pk_fma_f32 v[26:27], v[26:27], v[2:3], v[34:35] op_sel:[0,0,1] op_sel_hi:[1,0,0]
	s_nop 0
	v_mov_b32_e32 v37, v27
	v_pk_add_f32 v[34:35], v[58:59], v[36:37]
	v_pk_add_f32 v[26:27], v[18:19], v[58:59]
	v_pk_fma_f32 v[18:19], v[34:35], 0.5, v[18:19] op_sel_hi:[1,0,1] neg_lo:[1,0,0] neg_hi:[1,0,0]
	v_pk_add_f32 v[34:35], v[58:59], v[36:37] neg_lo:[0,1] neg_hi:[0,1]
	v_pk_add_f32 v[26:27], v[26:27], v[36:37]
	v_pk_mul_f32 v[34:35], v[34:35], s[0:1] op_sel_hi:[1,0]
	s_nop 0
	v_pk_add_f32 v[36:37], v[18:19], v[34:35] op_sel:[0,1] op_sel_hi:[1,0]
	v_pk_add_f32 v[18:19], v[18:19], v[34:35] op_sel:[0,1] op_sel_hi:[1,0] neg_lo:[0,1] neg_hi:[0,1]
	v_mov_b32_e32 v34, v36
	v_mov_b32_e32 v35, v19
	;; [unrolled: 1-line block ×3, first 2 shown]
	ds_write_b64 v137, v[18:19] offset:208
	v_pk_add_f32 v[18:19], v[20:21], v[54:55]
	v_mov_b32_e32 v20, v28
	v_pk_add_f32 v[18:19], v[18:19], v[40:41]
	v_mov_b32_e32 v21, v57
	ds_write2_b64 v137, v[26:27], v[34:35] offset1:13
	ds_write2_b64 v136, v[18:19], v[20:21] offset1:13
	v_pk_add_f32 v[18:19], v[22:23], v[42:43]
	v_mov_b32_e32 v57, v29
	v_pk_add_f32 v[18:19], v[18:19], v[32:33]
	v_mov_b32_e32 v20, v30
	v_mov_b32_e32 v21, v53
	ds_write_b64 v136, v[56:57] offset:208
	ds_write2_b64 v135, v[18:19], v[20:21] offset1:13
	v_pk_add_f32 v[18:19], v[24:25], v[48:49]
	v_mov_b32_e32 v53, v31
	v_pk_add_f32 v[18:19], v[18:19], v[46:47]
	v_mov_b32_e32 v20, v50
	v_mov_b32_e32 v21, v45
	ds_write_b64 v135, v[52:53] offset:208
	ds_write2_b64 v134, v[18:19], v[20:21] offset1:13
	v_sub_u16_sdwa v18, v38, v17 dst_sel:DWORD dst_unused:UNUSED_PAD src0_sel:DWORD src1_sel:WORD_1
	v_lshrrev_b16_e32 v18, 1, v18
	v_add_u16_sdwa v17, v18, v17 dst_sel:DWORD dst_unused:UNUSED_PAD src0_sel:DWORD src1_sel:WORD_1
	v_lshrrev_b16_e32 v20, 5, v17
	v_mul_lo_u16_e32 v17, 39, v20
	v_sub_u16_e32 v21, v38, v17
	v_mul_u32_u24_sdwa v17, v16, s14 dst_sel:DWORD dst_unused:UNUSED_PAD src0_sel:WORD_0 src1_sel:DWORD
	v_sub_u16_sdwa v22, v16, v17 dst_sel:DWORD dst_unused:UNUSED_PAD src0_sel:DWORD src1_sel:WORD_1
	v_lshrrev_b16_e32 v22, 1, v22
	v_add_u16_sdwa v17, v22, v17 dst_sel:DWORD dst_unused:UNUSED_PAD src0_sel:DWORD src1_sel:WORD_1
	v_lshrrev_b16_e32 v22, 5, v17
	v_mul_lo_u16_e32 v17, 39, v22
	v_mul_lo_u16_e32 v76, 24, v21
	v_sub_u16_e32 v23, v16, v17
	v_lshl_add_u64 v[18:19], s[10:11], 0, v[76:77]
	v_mul_lo_u16_e32 v76, 24, v23
	v_mov_b32_e32 v45, v51
	v_lshl_add_u64 v[16:17], s[10:11], 0, v[76:77]
	ds_write_b64 v134, v[44:45] offset:208
	s_waitcnt lgkmcnt(0)
	s_barrier
	global_load_dwordx4 v[32:35], v[16:17], off offset:208
	global_load_dwordx2 v[72:73], v[16:17], off offset:224
	global_load_dwordx4 v[28:31], v[18:19], off offset:208
	s_movk_i32 s14, 0xa5
	v_mul_lo_u16_sdwa v16, v60, s14 dst_sel:DWORD dst_unused:UNUSED_PAD src0_sel:BYTE_0 src1_sel:DWORD
	v_sub_u16_sdwa v17, v60, v16 dst_sel:DWORD dst_unused:UNUSED_PAD src0_sel:DWORD src1_sel:BYTE_1
	v_lshrrev_b16_e32 v17, 1, v17
	v_and_b32_e32 v17, 0x7f, v17
	v_add_u16_sdwa v16, v17, v16 dst_sel:DWORD dst_unused:UNUSED_PAD src0_sel:DWORD src1_sel:BYTE_1
	global_load_dwordx2 v[70:71], v[18:19], off offset:224
	v_lshrrev_b16_e32 v16, 5, v16
	v_and_b32_e32 v18, 7, v16
	v_mul_lo_u16_e32 v16, 39, v18
	v_sub_u16_e32 v16, v60, v16
	v_and_b32_e32 v19, 0xff, v16
	v_mad_u64_u32 v[16:17], s[14:15], v19, 24, s[10:11]
	global_load_dwordx4 v[24:27], v[16:17], off offset:208
	global_load_dwordx2 v[68:69], v[16:17], off offset:224
	s_movk_i32 s14, 0x9c
	v_mul_u32_u24_sdwa v16, v18, s14 dst_sel:DWORD dst_unused:UNUSED_PAD src0_sel:WORD_0 src1_sel:DWORD
	v_add_lshl_u32 v140, v16, v19, 3
	v_mad_legacy_u16 v16, v20, s14, v21
	v_lshlrev_b32_e32 v139, 3, v16
	v_mad_legacy_u16 v16, v22, s14, v23
	v_lshlrev_b32_e32 v138, 3, v16
	ds_read2_b64 v[16:19], v83 offset0:96 offset1:252
	ds_read2_b64 v[20:23], v65 offset0:56 offset1:212
	ds_read2_b64 v[36:39], v81 offset0:48 offset1:204
	ds_read2_b64 v[40:43], v63 offset0:24 offset1:180
	s_waitcnt vmcnt(5)
	v_mov_b32_e32 v44, v35
	s_waitcnt lgkmcnt(3)
	v_pk_mul_f32 v[44:45], v[16:17], v[44:45] op_sel_hi:[1,0]
	s_waitcnt vmcnt(3)
	v_mov_b32_e32 v54, v31
	v_pk_fma_f32 v[46:47], v[16:17], v[34:35], v[44:45] op_sel:[0,0,1] op_sel_hi:[1,1,0] neg_lo:[0,0,1] neg_hi:[0,0,1]
	v_pk_fma_f32 v[16:17], v[16:17], v[34:35], v[44:45] op_sel:[0,0,1] op_sel_hi:[1,0,0]
	s_nop 0
	v_mov_b32_e32 v47, v17
	s_waitcnt lgkmcnt(1)
	v_pk_mul_f32 v[16:17], v[38:39], v[32:33] op_sel_hi:[1,0]
	s_nop 0
	v_pk_fma_f32 v[50:51], v[38:39], v[32:33], v[16:17] op_sel:[0,1,1] op_sel_hi:[1,1,0]
	v_pk_fma_f32 v[16:17], v[38:39], v[32:33], v[16:17] op_sel:[0,1,1] op_sel_hi:[1,1,0] neg_lo:[1,0,0] neg_hi:[1,0,0]
	s_nop 0
	v_mov_b32_e32 v51, v17
	s_waitcnt lgkmcnt(0)
	v_pk_mul_f32 v[16:17], v[42:43], v[72:73] op_sel_hi:[1,0]
	s_nop 0
	v_pk_fma_f32 v[38:39], v[42:43], v[72:73], v[16:17] op_sel:[0,1,1] op_sel_hi:[1,1,0]
	v_pk_fma_f32 v[16:17], v[42:43], v[72:73], v[16:17] op_sel:[0,1,1] op_sel_hi:[1,1,0] neg_lo:[1,0,0] neg_hi:[1,0,0]
	ds_read2_b64 v[42:45], v79 offset0:40 offset1:196
	v_mov_b32_e32 v39, v17
	v_pk_add_f32 v[16:17], v[20:21], v[46:47] neg_lo:[0,1] neg_hi:[0,1]
	v_pk_add_f32 v[38:39], v[50:51], v[38:39] neg_lo:[0,1] neg_hi:[0,1]
	s_waitcnt lgkmcnt(0)
	v_pk_mul_f32 v[54:55], v[44:45], v[54:55] op_sel_hi:[1,0]
	v_pk_add_f32 v[52:53], v[16:17], v[38:39] neg_lo:[0,1] neg_hi:[0,1]
	v_pk_add_f32 v[46:47], v[16:17], v[38:39]
	v_pk_fma_f32 v[56:57], v[44:45], v[30:31], v[54:55] op_sel:[0,0,1] op_sel_hi:[1,1,0] neg_lo:[0,0,1] neg_hi:[0,0,1]
	v_pk_fma_f32 v[44:45], v[44:45], v[30:31], v[54:55] op_sel:[0,0,1] op_sel_hi:[1,0,0]
	v_mov_b32_e32 v53, v47
	ds_read2_b64 v[46:49], v61 offset1:156
	v_mov_b32_e32 v57, v45
	v_pk_mul_f32 v[44:45], v[36:37], v[28:29] op_sel_hi:[1,0]
	s_waitcnt lgkmcnt(0)
	v_pk_fma_f32 v[54:55], v[36:37], v[28:29], v[44:45] op_sel:[0,1,1] op_sel_hi:[1,1,0]
	v_pk_fma_f32 v[36:37], v[36:37], v[28:29], v[44:45] op_sel:[0,1,1] op_sel_hi:[1,1,0] neg_lo:[1,0,0] neg_hi:[1,0,0]
	s_barrier
	v_mov_b32_e32 v55, v37
	s_waitcnt vmcnt(2)
	v_pk_mul_f32 v[36:37], v[40:41], v[70:71] op_sel_hi:[1,0]
	s_nop 0
	v_pk_fma_f32 v[44:45], v[40:41], v[70:71], v[36:37] op_sel:[0,1,1] op_sel_hi:[1,1,0]
	v_pk_fma_f32 v[36:37], v[40:41], v[70:71], v[36:37] op_sel:[0,1,1] op_sel_hi:[1,1,0] neg_lo:[1,0,0] neg_hi:[1,0,0]
	s_nop 0
	v_mov_b32_e32 v45, v37
	v_pk_add_f32 v[36:37], v[48:49], v[56:57] neg_lo:[0,1] neg_hi:[0,1]
	v_pk_add_f32 v[40:41], v[54:55], v[44:45] neg_lo:[0,1] neg_hi:[0,1]
	s_nop 0
	v_pk_add_f32 v[44:45], v[36:37], v[40:41] neg_lo:[0,1] neg_hi:[0,1]
	v_pk_add_f32 v[56:57], v[36:37], v[40:41]
	s_nop 0
	v_mov_b32_e32 v45, v57
	s_waitcnt vmcnt(1)
	v_pk_mul_f32 v[56:57], v[22:23], v[24:25] op_sel:[0,1]
	s_nop 0
	v_pk_fma_f32 v[58:59], v[22:23], v[24:25], v[56:57] op_sel:[0,0,1] op_sel_hi:[1,1,0] neg_lo:[0,0,1] neg_hi:[0,0,1]
	v_pk_fma_f32 v[22:23], v[22:23], v[24:25], v[56:57] op_sel:[0,0,1] op_sel_hi:[1,0,0]
	s_nop 0
	v_mov_b32_e32 v22, v27
	v_mov_b32_e32 v59, v23
	v_pk_mul_f32 v[22:23], v[42:43], v[22:23] op_sel_hi:[1,0]
	s_nop 0
	v_pk_fma_f32 v[56:57], v[42:43], v[26:27], v[22:23] op_sel:[0,0,1] op_sel_hi:[1,1,0] neg_lo:[0,0,1] neg_hi:[0,0,1]
	v_pk_fma_f32 v[22:23], v[42:43], v[26:27], v[22:23] op_sel:[0,0,1] op_sel_hi:[1,0,0]
	s_nop 0
	v_mov_b32_e32 v57, v23
	s_waitcnt vmcnt(0)
	v_pk_mul_f32 v[22:23], v[18:19], v[68:69] op_sel:[0,1]
	s_nop 0
	v_pk_fma_f32 v[42:43], v[18:19], v[68:69], v[22:23] op_sel:[0,0,1] op_sel_hi:[1,1,0] neg_lo:[0,0,1] neg_hi:[0,0,1]
	v_pk_fma_f32 v[18:19], v[18:19], v[68:69], v[22:23] op_sel:[0,0,1] op_sel_hi:[1,0,0]
	s_nop 0
	v_mov_b32_e32 v43, v19
	v_pk_add_f32 v[18:19], v[46:47], v[56:57] neg_lo:[0,1] neg_hi:[0,1]
	v_pk_add_f32 v[42:43], v[58:59], v[42:43] neg_lo:[0,1] neg_hi:[0,1]
	v_pk_fma_f32 v[22:23], v[46:47], 2.0, v[18:19] op_sel_hi:[1,0,1] neg_lo:[0,0,1] neg_hi:[0,0,1]
	v_pk_fma_f32 v[46:47], v[58:59], 2.0, v[42:43] op_sel_hi:[1,0,1] neg_lo:[0,0,1] neg_hi:[0,0,1]
	v_pk_add_f32 v[56:57], v[18:19], v[42:43] op_sel:[0,1] op_sel_hi:[1,0] neg_lo:[0,1] neg_hi:[0,1]
	v_pk_add_f32 v[42:43], v[18:19], v[42:43] op_sel:[0,1] op_sel_hi:[1,0]
	v_pk_add_f32 v[46:47], v[22:23], v[46:47] neg_lo:[0,1] neg_hi:[0,1]
	v_mov_b32_e32 v57, v43
	v_pk_fma_f32 v[22:23], v[22:23], 2.0, v[46:47] op_sel_hi:[1,0,1] neg_lo:[0,0,1] neg_hi:[0,0,1]
	v_pk_fma_f32 v[18:19], v[18:19], 2.0, v[56:57] op_sel_hi:[1,0,1] neg_lo:[0,0,1] neg_hi:[0,0,1]
	ds_write2_b64 v140, v[22:23], v[18:19] offset1:39
	ds_write2_b64 v140, v[46:47], v[56:57] offset0:78 offset1:117
	v_pk_fma_f32 v[18:19], v[36:37], 2.0, v[44:45] op_sel_hi:[1,0,1] neg_lo:[0,0,1] neg_hi:[0,0,1]
	v_pk_fma_f32 v[22:23], v[48:49], 2.0, v[36:37] op_sel_hi:[1,0,1] neg_lo:[0,0,1] neg_hi:[0,0,1]
	;; [unrolled: 1-line block ×3, first 2 shown]
	s_nop 0
	v_pk_add_f32 v[36:37], v[22:23], v[36:37] op_sel:[0,1] op_sel_hi:[1,0] neg_lo:[0,1] neg_hi:[0,1]
	s_nop 0
	v_pk_fma_f32 v[22:23], v[22:23], 2.0, v[36:37] op_sel_hi:[1,0,1] neg_lo:[0,0,1] neg_hi:[0,0,1]
	ds_write2_b64 v139, v[22:23], v[18:19] offset1:39
	ds_write2_b64 v139, v[36:37], v[44:45] offset0:78 offset1:117
	v_pk_fma_f32 v[18:19], v[16:17], 2.0, v[52:53] op_sel_hi:[1,0,1] neg_lo:[0,0,1] neg_hi:[0,0,1]
	v_pk_fma_f32 v[16:17], v[20:21], 2.0, v[16:17] op_sel_hi:[1,0,1] neg_lo:[0,0,1] neg_hi:[0,0,1]
	;; [unrolled: 1-line block ×3, first 2 shown]
	v_mad_u64_u32 v[36:37], s[10:11], v60, 40, s[10:11]
	v_pk_add_f32 v[20:21], v[16:17], v[20:21] op_sel:[0,1] op_sel_hi:[1,0] neg_lo:[0,1] neg_hi:[0,1]
	s_nop 0
	v_pk_fma_f32 v[16:17], v[16:17], 2.0, v[20:21] op_sel_hi:[1,0,1] neg_lo:[0,0,1] neg_hi:[0,0,1]
	ds_write2_b64 v138, v[16:17], v[18:19] offset1:39
	ds_write2_b64 v138, v[20:21], v[52:53] offset0:78 offset1:117
	s_waitcnt lgkmcnt(0)
	s_barrier
	global_load_dwordx4 v[16:19], v[36:37], off offset:1160
	global_load_dwordx4 v[20:23], v[36:37], off offset:1144
	global_load_dwordx2 v[74:75], v[36:37], off offset:1176
	ds_read2_b64 v[38:41], v65 offset0:56 offset1:212
	ds_read2_b64 v[42:45], v81 offset0:48 offset1:204
	;; [unrolled: 1-line block ×3, first 2 shown]
	s_waitcnt vmcnt(2)
	v_mov_b32_e32 v76, v17
	s_waitcnt vmcnt(1)
	v_mov_b32_e32 v80, v23
	v_mov_b32_e32 v78, v21
	s_waitcnt lgkmcnt(2)
	v_pk_mul_f32 v[50:51], v[40:41], v[20:21] op_sel_hi:[1,0]
	v_mov_b32_e32 v82, v19
	v_pk_fma_f32 v[52:53], v[40:41], v[78:79], v[50:51] op_sel:[0,0,1] op_sel_hi:[1,1,0]
	v_pk_fma_f32 v[50:51], v[40:41], v[20:21], v[50:51] op_sel:[0,1,1] op_sel_hi:[1,1,0] neg_lo:[1,0,0] neg_hi:[1,0,0]
	s_waitcnt lgkmcnt(1)
	v_pk_mul_f32 v[40:41], v[44:45], v[80:81] op_sel_hi:[1,0]
	v_mov_b32_e32 v53, v51
	v_pk_fma_f32 v[54:55], v[44:45], v[22:23], v[40:41] op_sel:[0,0,1] op_sel_hi:[1,1,0] neg_lo:[0,0,1] neg_hi:[0,0,1]
	v_pk_fma_f32 v[56:57], v[44:45], v[22:23], v[40:41] op_sel:[0,0,1] op_sel_hi:[1,0,0]
	v_pk_mul_f32 v[40:41], v[38:39], v[20:21] op_sel:[0,1]
	v_mov_b32_e32 v55, v57
	v_pk_fma_f32 v[58:59], v[38:39], v[20:21], v[40:41] op_sel:[0,0,1] op_sel_hi:[1,1,0] neg_lo:[0,0,1] neg_hi:[0,0,1]
	v_pk_fma_f32 v[84:85], v[38:39], v[20:21], v[40:41] op_sel:[0,0,1] op_sel_hi:[1,0,0]
	v_pk_mul_f32 v[38:39], v[42:43], v[80:81] op_sel_hi:[1,0]
	v_mov_b32_e32 v59, v85
	v_pk_fma_f32 v[86:87], v[42:43], v[22:23], v[38:39] op_sel:[0,0,1] op_sel_hi:[1,1,0] neg_lo:[0,0,1] neg_hi:[0,0,1]
	v_pk_fma_f32 v[88:89], v[42:43], v[22:23], v[38:39] op_sel:[0,0,1] op_sel_hi:[1,0,0]
	s_waitcnt lgkmcnt(0)
	v_pk_mul_f32 v[38:39], v[48:49], v[16:17] op_sel_hi:[1,0]
	v_pk_mul_f32 v[42:43], v[46:47], v[16:17] op_sel:[0,1]
	v_pk_fma_f32 v[90:91], v[48:49], v[76:77], v[38:39] op_sel:[0,0,1] op_sel_hi:[1,1,0]
	v_pk_fma_f32 v[48:49], v[48:49], v[16:17], v[38:39] op_sel:[0,1,1] op_sel_hi:[1,1,0] neg_lo:[1,0,0] neg_hi:[1,0,0]
	ds_read2_b64 v[38:41], v83 offset0:96 offset1:252
	v_pk_fma_f32 v[92:93], v[46:47], v[16:17], v[42:43] op_sel:[0,0,1] op_sel_hi:[1,1,0] neg_lo:[0,0,1] neg_hi:[0,0,1]
	v_pk_fma_f32 v[46:47], v[46:47], v[16:17], v[42:43] op_sel:[0,0,1] op_sel_hi:[1,0,0]
	ds_read2_b64 v[42:45], v63 offset0:24 offset1:180
	v_mov_b32_e32 v87, v89
	s_waitcnt lgkmcnt(1)
	v_pk_mul_f32 v[94:95], v[40:41], v[82:83] op_sel_hi:[1,0]
	v_mov_b32_e32 v93, v47
	v_pk_fma_f32 v[96:97], v[40:41], v[18:19], v[94:95] op_sel:[0,0,1] op_sel_hi:[1,1,0] neg_lo:[0,0,1] neg_hi:[0,0,1]
	v_pk_fma_f32 v[94:95], v[40:41], v[18:19], v[94:95] op_sel:[0,0,1] op_sel_hi:[1,0,0]
	v_pk_mul_f32 v[40:41], v[38:39], v[82:83] op_sel_hi:[1,0]
	v_mov_b32_e32 v97, v95
	v_pk_fma_f32 v[98:99], v[38:39], v[18:19], v[40:41] op_sel:[0,0,1] op_sel_hi:[1,1,0] neg_lo:[0,0,1] neg_hi:[0,0,1]
	v_pk_fma_f32 v[100:101], v[38:39], v[18:19], v[40:41] op_sel:[0,0,1] op_sel_hi:[1,0,0]
	s_waitcnt vmcnt(0) lgkmcnt(0)
	v_pk_mul_f32 v[38:39], v[44:45], v[74:75] op_sel_hi:[1,0]
	v_mov_b32_e32 v40, v75
	v_pk_fma_f32 v[102:103], v[44:45], v[40:41], v[38:39] op_sel:[0,0,1] op_sel_hi:[1,1,0]
	v_pk_fma_f32 v[44:45], v[44:45], v[74:75], v[38:39] op_sel:[0,1,1] op_sel_hi:[1,1,0] neg_lo:[1,0,0] neg_hi:[1,0,0]
	v_pk_mul_f32 v[38:39], v[42:43], v[74:75] op_sel:[0,1]
	v_mov_b32_e32 v99, v101
	v_pk_fma_f32 v[104:105], v[42:43], v[74:75], v[38:39] op_sel:[0,0,1] op_sel_hi:[1,1,0] neg_lo:[0,0,1] neg_hi:[0,0,1]
	v_pk_fma_f32 v[42:43], v[42:43], v[74:75], v[38:39] op_sel:[0,0,1] op_sel_hi:[1,0,0]
	ds_read2_b64 v[38:41], v61 offset1:156
	v_pk_add_f32 v[46:47], v[86:87], v[98:99]
	v_pk_add_f32 v[84:85], v[86:87], v[98:99] neg_lo:[0,1] neg_hi:[0,1]
	v_mov_b32_e32 v105, v43
	s_waitcnt lgkmcnt(0)
	v_pk_add_f32 v[42:43], v[38:39], v[86:87]
	v_pk_fma_f32 v[38:39], v[46:47], 0.5, v[38:39] op_sel_hi:[1,0,1] neg_lo:[1,0,0] neg_hi:[1,0,0]
	v_pk_mul_f32 v[46:47], v[84:85], s[0:1] op_sel_hi:[1,0]
	v_pk_add_f32 v[86:87], v[92:93], v[104:105] neg_lo:[0,1] neg_hi:[0,1]
	v_pk_add_f32 v[84:85], v[46:47], v[38:39] op_sel:[1,0] op_sel_hi:[0,1]
	v_pk_add_f32 v[38:39], v[38:39], v[46:47] op_sel:[0,1] op_sel_hi:[1,0] neg_lo:[0,1] neg_hi:[0,1]
	v_pk_add_f32 v[46:47], v[92:93], v[104:105]
	v_pk_add_f32 v[42:43], v[42:43], v[98:99]
	v_pk_fma_f32 v[46:47], v[46:47], 0.5, v[58:59] op_sel_hi:[1,0,1] neg_lo:[1,0,0] neg_hi:[1,0,0]
	v_pk_add_f32 v[58:59], v[58:59], v[92:93]
	v_pk_fma_f32 v[88:89], v[86:87], s[0:1], v[46:47] op_sel:[0,0,1] op_sel_hi:[1,0,0]
	v_pk_fma_f32 v[46:47], v[86:87], s[0:1], v[46:47] op_sel:[0,0,1] op_sel_hi:[1,0,0] neg_lo:[1,0,0] neg_hi:[1,0,0]
	v_mul_f32_e32 v19, 0xbf5db3d7, v89
	v_mul_f32_e32 v17, 0x3f5db3d7, v46
	v_pk_add_f32 v[58:59], v[58:59], v[104:105]
	v_fmac_f32_e32 v17, 0.5, v89
	v_fmac_f32_e32 v19, 0.5, v46
	v_add_f32_e32 v86, v84, v17
	v_add_f32_e32 v87, v39, v19
	v_pk_add_f32 v[92:93], v[42:43], v[58:59]
	v_mov_b32_e32 v46, v88
	s_barrier
	ds_write2_b64 v61, v[92:93], v[86:87] offset1:156
	v_pk_mul_f32 v[86:87], v[46:47], 0.5 op_sel_hi:[1,0]
	v_pk_add_f32 v[42:43], v[42:43], v[58:59] neg_lo:[0,1] neg_hi:[0,1]
	v_pk_fma_f32 v[46:47], v[46:47], s[0:1], v[86:87] op_sel:[0,0,1] op_sel_hi:[1,1,0] neg_lo:[0,0,1] neg_hi:[0,0,1]
	v_mov_b32_e32 v58, v38
	v_mov_b32_e32 v59, v85
	v_pk_add_f32 v[86:87], v[58:59], v[46:47]
	ds_write2_b64 v65, v[86:87], v[42:43] offset0:56 offset1:212
	v_sub_f32_e32 v38, v84, v17
	v_sub_f32_e32 v39, v39, v19
	v_pk_add_f32 v[42:43], v[58:59], v[46:47] neg_lo:[0,1] neg_hi:[0,1]
	v_mov_b32_e32 v103, v45
	v_pk_add_f32 v[44:45], v[54:55], v[96:97]
	ds_write2_b64 v81, v[38:39], v[42:43] offset0:48 offset1:204
	v_pk_add_f32 v[38:39], v[54:55], v[96:97] neg_lo:[0,1] neg_hi:[0,1]
	v_mov_b32_e32 v91, v49
	v_pk_fma_f32 v[44:45], v[44:45], 0.5, v[40:41] op_sel_hi:[1,0,1] neg_lo:[1,0,0] neg_hi:[1,0,0]
	v_pk_mul_f32 v[38:39], v[38:39], s[0:1] op_sel_hi:[1,0]
	v_pk_add_f32 v[46:47], v[90:91], v[102:103] neg_lo:[0,1] neg_hi:[0,1]
	v_pk_add_f32 v[42:43], v[38:39], v[44:45] op_sel:[1,0] op_sel_hi:[0,1]
	v_pk_add_f32 v[38:39], v[44:45], v[38:39] op_sel:[0,1] op_sel_hi:[1,0] neg_lo:[0,1] neg_hi:[0,1]
	v_pk_add_f32 v[44:45], v[90:91], v[102:103]
	v_pk_mul_f32 v[46:47], v[46:47], s[0:1] op_sel_hi:[1,0]
	v_pk_fma_f32 v[44:45], v[44:45], 0.5, v[52:53] op_sel_hi:[1,0,1] neg_lo:[1,0,0] neg_hi:[1,0,0]
	v_pk_add_f32 v[40:41], v[40:41], v[54:55]
	v_pk_add_f32 v[48:49], v[46:47], v[44:45] op_sel:[1,0] op_sel_hi:[0,1]
	v_pk_add_f32 v[44:45], v[44:45], v[46:47] op_sel:[0,1] op_sel_hi:[1,0] neg_lo:[0,1] neg_hi:[0,1]
	v_mov_b32_e32 v46, v48
	v_mul_f32_e32 v17, 0x3f5db3d7, v44
	v_mov_b32_e32 v47, v45
	v_fmac_f32_e32 v17, 0.5, v49
	v_mul_f32_e32 v19, 0xbf5db3d7, v49
	v_pk_mul_f32 v[50:51], v[46:47], 0.5 op_sel_hi:[1,0]
	v_fmac_f32_e32 v19, 0.5, v44
	v_add_f32_e32 v44, v42, v17
	v_sub_f32_e32 v42, v42, v17
	v_lshlrev_b32_e32 v17, 5, v60
	v_pk_fma_f32 v[46:47], v[46:47], s[0:1], v[50:51] op_sel:[0,0,1] op_sel_hi:[1,1,0] neg_lo:[0,0,1] neg_hi:[0,0,1]
	v_mov_b32_e32 v49, v43
	v_mov_b32_e32 v48, v38
	v_sub_co_u32_e32 v17, vcc, v36, v17
	v_add_f32_e32 v45, v39, v19
	v_sub_f32_e32 v43, v39, v19
	v_pk_add_f32 v[38:39], v[48:49], v[46:47] neg_lo:[0,1] neg_hi:[0,1]
	v_pk_add_f32 v[46:47], v[48:49], v[46:47]
	v_pk_add_f32 v[48:49], v[52:53], v[90:91]
	v_subbrev_co_u32_e32 v19, vcc, 0, v37, vcc
	s_movk_i32 s0, 0x2000
	v_pk_add_f32 v[40:41], v[40:41], v[96:97]
	v_pk_add_f32 v[48:49], v[48:49], v[102:103]
	v_add_co_u32_e32 v36, vcc, s0, v17
	v_pk_add_f32 v[50:51], v[40:41], v[48:49] op_sel:[0,1] op_sel_hi:[1,0] neg_lo:[0,1] neg_hi:[0,1]
	v_pk_add_f32 v[40:41], v[40:41], v[48:49] op_sel:[0,1] op_sel_hi:[1,0]
	v_addc_co_u32_e32 v37, vcc, 0, v19, vcc
	ds_write2_b64 v79, v[40:41], v[44:45] offset0:40 offset1:196
	ds_write2_b64 v83, v[46:47], v[50:51] offset0:96 offset1:252
	;; [unrolled: 1-line block ×3, first 2 shown]
	s_waitcnt lgkmcnt(0)
	s_barrier
	global_load_dwordx2 v[86:87], v[36:37], off offset:440
	s_movk_i32 s0, 0x1000
	v_add_co_u32_e32 v38, vcc, s0, v17
	s_movk_i32 s0, 0x3000
	s_nop 0
	v_addc_co_u32_e32 v39, vcc, 0, v19, vcc
	global_load_dwordx2 v[84:85], v[36:37], off offset:1688
	global_load_dwordx2 v[88:89], v[36:37], off offset:2936
	;; [unrolled: 1-line block ×3, first 2 shown]
	v_add_co_u32_e32 v36, vcc, s0, v17
	s_waitcnt vmcnt(3)
	v_mov_b32_e32 v40, v87
	v_addc_co_u32_e32 v37, vcc, 0, v19, vcc
	global_load_dwordx2 v[94:95], v[36:37], off offset:88
	global_load_dwordx2 v[90:91], v[36:37], off offset:1336
	ds_read2_b64 v[36:39], v79 offset0:40 offset1:196
	ds_read2_b64 v[96:99], v81 offset0:48 offset1:204
	s_waitcnt lgkmcnt(1)
	v_pk_mul_f32 v[42:43], v[38:39], v[86:87] op_sel:[1,0] op_sel_hi:[0,1]
	v_mov_b32_e32 v17, v42
	ds_read2_b64 v[42:45], v61 offset1:156
	v_pk_mul_f32 v[40:41], v[38:39], v[40:41] op_sel:[1,0] op_sel_hi:[0,1]
	v_pk_fma_f32 v[40:41], v[38:39], v[86:87], v[40:41] neg_lo:[0,0,1] neg_hi:[0,0,1]
	v_pk_fma_f32 v[50:51], v[38:39], v[86:87], v[16:17] op_sel:[1,0,0] op_sel_hi:[0,1,1]
	s_waitcnt vmcnt(2)
	v_pk_mul_f32 v[38:39], v[36:37], v[92:93] op_sel:[0,1]
	v_mov_b32_e32 v41, v51
	v_pk_fma_f32 v[46:47], v[36:37], v[92:93], v[38:39] op_sel:[0,0,1] op_sel_hi:[1,1,0] neg_lo:[0,0,1] neg_hi:[0,0,1]
	v_pk_fma_f32 v[36:37], v[36:37], v[92:93], v[38:39] op_sel:[0,0,1] op_sel_hi:[1,0,0]
	s_nop 0
	v_mov_b32_e32 v47, v37
	s_waitcnt lgkmcnt(0)
	v_pk_add_f32 v[38:39], v[42:43], v[46:47] neg_lo:[0,1] neg_hi:[0,1]
	ds_read2_b64 v[46:49], v83 offset0:96 offset1:252
	v_pk_fma_f32 v[36:37], v[42:43], 2.0, v[38:39] op_sel_hi:[1,0,1] neg_lo:[0,0,1] neg_hi:[0,0,1]
	v_pk_add_f32 v[42:43], v[44:45], v[40:41] neg_lo:[0,1] neg_hi:[0,1]
	s_waitcnt lgkmcnt(0)
	v_pk_mul_f32 v[50:51], v[46:47], v[84:85] op_sel:[1,0] op_sel_hi:[0,1]
	v_mov_b32_e32 v17, v50
	ds_read2_b64 v[50:53], v63 offset0:24 offset1:180
	v_pk_mul_f32 v[54:55], v[48:49], v[88:89] op_sel:[0,1]
	v_pk_fma_f32 v[40:41], v[44:45], 2.0, v[42:43] op_sel_hi:[1,0,1] neg_lo:[0,0,1] neg_hi:[0,0,1]
	v_pk_fma_f32 v[58:59], v[48:49], v[88:89], v[54:55] op_sel:[0,0,1] op_sel_hi:[1,1,0] neg_lo:[0,0,1] neg_hi:[0,0,1]
	v_pk_fma_f32 v[48:49], v[48:49], v[88:89], v[54:55] op_sel:[0,0,1] op_sel_hi:[1,0,0]
	v_mov_b32_e32 v44, v85
	v_pk_mul_f32 v[44:45], v[46:47], v[44:45] op_sel:[1,0] op_sel_hi:[0,1]
	v_pk_fma_f32 v[44:45], v[46:47], v[84:85], v[44:45] neg_lo:[0,0,1] neg_hi:[0,0,1]
	v_pk_fma_f32 v[46:47], v[46:47], v[84:85], v[16:17] op_sel:[1,0,0] op_sel_hi:[0,1,1]
	v_mov_b32_e32 v45, v47
	v_mov_b32_e32 v59, v49
	s_waitcnt vmcnt(1) lgkmcnt(0)
	v_pk_mul_f32 v[54:55], v[50:51], v[94:95] op_sel:[0,1]
	s_nop 0
	v_pk_fma_f32 v[100:101], v[50:51], v[94:95], v[54:55] op_sel:[0,0,1] op_sel_hi:[1,1,0] neg_lo:[0,0,1] neg_hi:[0,0,1]
	v_pk_fma_f32 v[102:103], v[50:51], v[94:95], v[54:55] op_sel:[0,0,1] op_sel_hi:[1,0,0]
	ds_read2_b64 v[54:57], v65 offset0:56 offset1:212
	s_waitcnt vmcnt(0)
	v_pk_mul_f32 v[50:51], v[52:53], v[90:91] op_sel:[0,1]
	v_mov_b32_e32 v101, v103
	v_pk_fma_f32 v[104:105], v[52:53], v[90:91], v[50:51] op_sel:[0,0,1] op_sel_hi:[1,1,0] neg_lo:[0,0,1] neg_hi:[0,0,1]
	v_pk_fma_f32 v[52:53], v[52:53], v[90:91], v[50:51] op_sel:[0,0,1] op_sel_hi:[1,0,0]
	s_waitcnt lgkmcnt(0)
	v_pk_add_f32 v[46:47], v[54:55], v[44:45] neg_lo:[0,1] neg_hi:[0,1]
	v_mov_b32_e32 v105, v53
	v_pk_fma_f32 v[44:45], v[54:55], 2.0, v[46:47] op_sel_hi:[1,0,1] neg_lo:[0,0,1] neg_hi:[0,0,1]
	v_pk_add_f32 v[50:51], v[56:57], v[58:59] neg_lo:[0,1] neg_hi:[0,1]
	v_pk_add_f32 v[54:55], v[96:97], v[100:101] neg_lo:[0,1] neg_hi:[0,1]
	;; [unrolled: 1-line block ×3, first 2 shown]
	v_pk_fma_f32 v[48:49], v[56:57], 2.0, v[50:51] op_sel_hi:[1,0,1] neg_lo:[0,0,1] neg_hi:[0,0,1]
	v_pk_fma_f32 v[52:53], v[96:97], 2.0, v[54:55] op_sel_hi:[1,0,1] neg_lo:[0,0,1] neg_hi:[0,0,1]
	;; [unrolled: 1-line block ×3, first 2 shown]
	ds_write2_b64 v79, v[38:39], v[42:43] offset0:40 offset1:196
	ds_write2_b64 v65, v[44:45], v[48:49] offset0:56 offset1:212
	;; [unrolled: 1-line block ×5, first 2 shown]
	ds_write2_b64 v61, v[36:37], v[40:41] offset1:156
	v_lshlrev_b32_e32 v63, 3, v60
	s_waitcnt lgkmcnt(0)
	s_barrier
	s_and_saveexec_b64 s[0:1], s[2:3]
	s_cbranch_execz .LBB0_9
; %bb.8:
	v_mov_b32_e32 v65, v77
	v_lshl_add_u64 v[100:101], s[8:9], 0, v[64:65]
	v_add_co_u32_e32 v98, vcc, 0x3000, v100
	ds_read_b64 v[96:97], v61
	s_nop 0
	v_addc_co_u32_e32 v99, vcc, 0, v101, vcc
	global_load_dwordx2 v[98:99], v[98:99], off offset:2688
	s_mov_b64 s[10:11], 0x3a80
	v_lshl_add_u64 v[102:103], v[100:101], 0, s[10:11]
	s_movk_i32 s10, 0x4000
	s_waitcnt vmcnt(0) lgkmcnt(0)
	v_mul_f32_e32 v17, v97, v99
	v_mul_f32_e32 v105, v96, v99
	v_fma_f32 v104, v96, v98, -v17
	v_fmac_f32_e32 v105, v97, v98
	ds_write_b64 v61, v[104:105]
	global_load_dwordx2 v[104:105], v[102:103], off offset:1152
	v_add_u32_e32 v17, 0x400, v63
	ds_read2_b64 v[96:99], v17 offset0:16 offset1:160
	s_waitcnt vmcnt(0) lgkmcnt(0)
	v_mul_f32_e32 v19, v97, v105
	v_mul_f32_e32 v107, v96, v105
	v_fma_f32 v106, v96, v104, -v19
	v_fmac_f32_e32 v107, v97, v104
	global_load_dwordx2 v[96:97], v[102:103], off offset:2304
	s_waitcnt vmcnt(0)
	v_mul_f32_e32 v19, v99, v97
	global_load_dwordx2 v[102:103], v[102:103], off offset:3456
	v_mul_f32_e32 v105, v98, v97
	v_fma_f32 v104, v98, v96, -v19
	v_fmac_f32_e32 v105, v99, v96
	ds_write2_b64 v17, v[106:107], v[104:105] offset0:16 offset1:160
	v_add_u32_e32 v17, 0xc00, v63
	ds_read2_b64 v[96:99], v17 offset0:48 offset1:192
	s_waitcnt vmcnt(0) lgkmcnt(0)
	v_mul_f32_e32 v19, v97, v103
	v_fma_f32 v104, v96, v102, -v19
	v_mul_f32_e32 v105, v96, v103
	v_add_co_u32_e32 v96, vcc, s10, v100
	v_fmac_f32_e32 v105, v97, v102
	s_nop 0
	v_addc_co_u32_e32 v97, vcc, 0, v101, vcc
	global_load_dwordx2 v[96:97], v[96:97], off offset:3200
	s_movk_i32 s10, 0x5000
	s_waitcnt vmcnt(0)
	v_mul_f32_e32 v19, v99, v97
	v_mul_f32_e32 v103, v98, v97
	v_fma_f32 v102, v98, v96, -v19
	v_fmac_f32_e32 v103, v99, v96
	ds_write2_b64 v17, v[104:105], v[102:103] offset0:48 offset1:192
	v_add_co_u32_e32 v102, vcc, s10, v100
	v_add_u32_e32 v17, 0x1400, v63
	s_nop 0
	v_addc_co_u32_e32 v103, vcc, 0, v101, vcc
	global_load_dwordx2 v[104:105], v[102:103], off offset:256
	ds_read2_b64 v[96:99], v17 offset0:80 offset1:224
	s_movk_i32 s10, 0x6000
	s_waitcnt vmcnt(0) lgkmcnt(0)
	v_mul_f32_e32 v19, v97, v105
	v_mul_f32_e32 v107, v96, v105
	v_fma_f32 v106, v96, v104, -v19
	v_fmac_f32_e32 v107, v97, v104
	global_load_dwordx2 v[96:97], v[102:103], off offset:1408
	s_waitcnt vmcnt(0)
	v_mul_f32_e32 v19, v99, v97
	v_mul_f32_e32 v105, v98, v97
	v_fma_f32 v104, v98, v96, -v19
	v_fmac_f32_e32 v105, v99, v96
	ds_write2_b64 v17, v[106:107], v[104:105] offset0:80 offset1:224
	global_load_dwordx2 v[104:105], v[102:103], off offset:2560
	v_add_u32_e32 v17, 0x1e00, v63
	ds_read2_b64 v[96:99], v17 offset0:48 offset1:192
	s_waitcnt vmcnt(0) lgkmcnt(0)
	v_mul_f32_e32 v19, v97, v105
	v_mul_f32_e32 v107, v96, v105
	v_fma_f32 v106, v96, v104, -v19
	v_fmac_f32_e32 v107, v97, v104
	global_load_dwordx2 v[96:97], v[102:103], off offset:3712
	s_waitcnt vmcnt(0)
	v_mul_f32_e32 v19, v99, v97
	v_mul_f32_e32 v103, v98, v97
	v_fma_f32 v102, v98, v96, -v19
	v_fmac_f32_e32 v103, v99, v96
	ds_write2_b64 v17, v[106:107], v[102:103] offset0:48 offset1:192
	v_add_co_u32_e32 v102, vcc, s10, v100
	v_add_u32_e32 v17, 0x2800, v63
	s_nop 0
	v_addc_co_u32_e32 v103, vcc, 0, v101, vcc
	global_load_dwordx2 v[104:105], v[102:103], off offset:768
	ds_read2_b64 v[96:99], v17 offset0:16 offset1:160
	s_waitcnt vmcnt(0) lgkmcnt(0)
	v_mul_f32_e32 v19, v97, v105
	v_mul_f32_e32 v107, v96, v105
	v_fma_f32 v106, v96, v104, -v19
	v_fmac_f32_e32 v107, v97, v104
	global_load_dwordx2 v[96:97], v[102:103], off offset:1920
	s_waitcnt vmcnt(0)
	v_mul_f32_e32 v19, v99, v97
	global_load_dwordx2 v[102:103], v[102:103], off offset:3072
	v_mul_f32_e32 v105, v98, v97
	v_fma_f32 v104, v98, v96, -v19
	v_fmac_f32_e32 v105, v99, v96
	ds_write2_b64 v17, v[106:107], v[104:105] offset0:16 offset1:160
	v_add_u32_e32 v17, 0x3000, v63
	ds_read2_b64 v[96:99], v17 offset0:48 offset1:192
	s_waitcnt vmcnt(0) lgkmcnt(0)
	v_mul_f32_e32 v19, v97, v103
	v_fma_f32 v104, v96, v102, -v19
	v_mul_f32_e32 v105, v96, v103
	v_add_co_u32_e32 v96, vcc, 0x7000, v100
	v_fmac_f32_e32 v105, v97, v102
	s_nop 0
	v_addc_co_u32_e32 v97, vcc, 0, v101, vcc
	global_load_dwordx2 v[96:97], v[96:97], off offset:128
	s_waitcnt vmcnt(0)
	v_mul_f32_e32 v19, v99, v97
	v_mul_f32_e32 v101, v98, v97
	v_fma_f32 v100, v98, v96, -v19
	v_fmac_f32_e32 v101, v99, v96
	ds_write2_b64 v17, v[104:105], v[100:101] offset0:48 offset1:192
.LBB0_9:
	s_or_b64 exec, exec, s[0:1]
	s_waitcnt lgkmcnt(0)
	s_barrier
	s_and_saveexec_b64 s[0:1], s[2:3]
	s_cbranch_execz .LBB0_11
; %bb.10:
	v_add_u32_e32 v17, 0x800, v61
	ds_read2_b64 v[40:43], v17 offset0:32 offset1:176
	v_add_u32_e32 v17, 0x1000, v61
	ds_read2_b64 v[44:47], v17 offset0:64 offset1:208
	;; [unrolled: 2-line block ×3, first 2 shown]
	v_add_u32_e32 v17, 0x2400, v61
	ds_read2_b64 v[52:55], v17 offset1:144
	v_add_u32_e32 v17, 0x2c00, v61
	ds_read2_b64 v[36:39], v61 offset1:144
	ds_read2_b64 v[56:59], v17 offset0:32 offset1:176
	ds_read_b64 v[66:67], v61 offset:13824
.LBB0_11:
	s_or_b64 exec, exec, s[0:1]
	v_mov_b32_e32 v130, v12
	v_mov_b32_e32 v131, v12
	;; [unrolled: 1-line block ×62, first 2 shown]
	s_waitcnt lgkmcnt(0)
	s_barrier
	s_and_saveexec_b64 s[0:1], s[2:3]
	s_cbranch_execz .LBB0_13
; %bb.12:
	v_accvgpr_write_b32 a0, v134
	v_accvgpr_write_b32 a1, v135
	v_pk_add_f32 v[134:135], v[38:39], v[36:37]
	v_pk_add_f32 v[184:185], v[38:39], v[66:67] neg_lo:[0,1] neg_hi:[0,1]
	s_mov_b32 s10, 0xbeedf032
	v_lshlrev_b32_e32 v65, 3, v132
	v_pk_add_f32 v[132:133], v[40:41], v[134:135]
	v_pk_add_f32 v[186:187], v[66:67], v[38:39]
	v_pk_add_f32 v[174:175], v[40:41], v[58:59] neg_lo:[0,1] neg_hi:[0,1]
	v_pk_add_f32 v[172:173], v[58:59], v[40:41]
	v_pk_mul_f32 v[40:41], v[184:185], s[10:11] op_sel_hi:[1,0]
	v_pk_add_f32 v[132:133], v[42:43], v[132:133]
	v_pk_add_f32 v[170:171], v[42:43], v[56:57] neg_lo:[0,1] neg_hi:[0,1]
	v_pk_add_f32 v[168:169], v[56:57], v[42:43]
	v_pk_fma_f32 v[42:43], v[186:187], s[16:17], v[40:41] op_sel:[0,0,1] op_sel_hi:[1,0,0]
	v_pk_fma_f32 v[40:41], v[186:187], s[16:17], v[40:41] op_sel:[0,0,1] op_sel_hi:[1,0,0] neg_lo:[0,0,1] neg_hi:[0,0,1]
	s_mov_b32 s30, 0xbf52af12
	v_pk_add_f32 v[132:133], v[44:45], v[132:133]
	v_pk_add_f32 v[166:167], v[44:45], v[54:55] neg_lo:[0,1] neg_hi:[0,1]
	v_pk_add_f32 v[164:165], v[54:55], v[44:45]
	v_accvgpr_write_b32 a3, v43
	v_mov_b32_e32 v43, v41
	s_mov_b32 s14, 0x3f116cb1
	v_pk_mul_f32 v[44:45], v[174:175], s[30:31] op_sel_hi:[1,0]
	v_pk_add_f32 v[132:133], v[46:47], v[132:133]
	v_pk_add_f32 v[162:163], v[46:47], v[52:53] neg_lo:[0,1] neg_hi:[0,1]
	v_pk_add_f32 v[160:161], v[52:53], v[46:47]
	v_pk_add_f32 v[46:47], v[36:37], v[42:43]
	v_pk_fma_f32 v[42:43], v[172:173], s[14:15], v[44:45] op_sel:[0,0,1] op_sel_hi:[1,0,0]
	v_pk_fma_f32 v[44:45], v[172:173], s[14:15], v[44:45] op_sel:[0,0,1] op_sel_hi:[1,0,0] neg_lo:[0,0,1] neg_hi:[0,0,1]
	v_pk_add_f32 v[132:133], v[48:49], v[132:133]
	v_pk_add_f32 v[158:159], v[48:49], v[50:51] neg_lo:[0,1] neg_hi:[0,1]
	v_pk_add_f32 v[156:157], v[50:51], v[48:49]
	v_mov_b32_e32 v48, v42
	v_mov_b32_e32 v49, v45
	s_mov_b32 s38, 0xbf7e222b
	v_pk_add_f32 v[132:133], v[50:51], v[132:133]
	v_pk_add_f32 v[50:51], v[48:49], v[46:47]
	s_mov_b32 s10, 0x3df6dbef
	v_pk_mul_f32 v[48:49], v[170:171], s[38:39] op_sel_hi:[1,0]
	v_pk_add_f32 v[132:133], v[52:53], v[132:133]
	v_pk_fma_f32 v[46:47], v[168:169], s[10:11], v[48:49] op_sel:[0,0,1] op_sel_hi:[1,0,0]
	v_pk_fma_f32 v[48:49], v[168:169], s[10:11], v[48:49] op_sel:[0,0,1] op_sel_hi:[1,0,0] neg_lo:[0,0,1] neg_hi:[0,0,1]
	v_mov_b32_e32 v52, v46
	v_mov_b32_e32 v53, v49
	v_pk_add_f32 v[132:133], v[54:55], v[132:133]
	v_pk_add_f32 v[54:55], v[52:53], v[50:51]
	v_pk_mul_f32 v[52:53], v[166:167], s[20:21] op_sel_hi:[1,0]
	v_pk_add_f32 v[132:133], v[56:57], v[132:133]
	v_pk_fma_f32 v[50:51], v[164:165], s[18:19], v[52:53] op_sel:[0,0,1] op_sel_hi:[1,0,0]
	v_pk_fma_f32 v[52:53], v[164:165], s[18:19], v[52:53] op_sel:[0,0,1] op_sel_hi:[1,0,0] neg_lo:[0,0,1] neg_hi:[0,0,1]
	v_mov_b32_e32 v56, v50
	v_mov_b32_e32 v57, v53
	v_pk_add_f32 v[132:133], v[58:59], v[132:133]
	v_pk_add_f32 v[58:59], v[56:57], v[54:55]
	v_pk_mul_f32 v[56:57], v[162:163], s[24:25] op_sel_hi:[1,0]
	v_pk_add_f32 v[132:133], v[66:67], v[132:133]
	v_pk_fma_f32 v[54:55], v[160:161], s[22:23], v[56:57] op_sel:[0,0,1] op_sel_hi:[1,0,0]
	v_pk_fma_f32 v[56:57], v[160:161], s[22:23], v[56:57] op_sel:[0,0,1] op_sel_hi:[1,0,0] neg_lo:[0,0,1] neg_hi:[0,0,1]
	v_mov_b32_e32 v66, v54
	v_mov_b32_e32 v67, v57
	s_mov_b32 s28, 0xbe750f2a
	v_pk_add_f32 v[134:135], v[66:67], v[58:59]
	s_mov_b32 s26, 0xbf788fa5
	v_pk_mul_f32 v[66:67], v[158:159], s[28:29] op_sel_hi:[1,0]
	v_mov_b32_e32 v38, v136
	v_pk_fma_f32 v[58:59], v[156:157], s[26:27], v[66:67] op_sel:[0,0,1] op_sel_hi:[1,0,0]
	v_pk_fma_f32 v[66:67], v[156:157], s[26:27], v[66:67] op_sel:[0,0,1] op_sel_hi:[1,0,0] neg_lo:[0,0,1] neg_hi:[0,0,1]
	v_mov_b32_e32 v136, v58
	v_mov_b32_e32 v41, v137
	;; [unrolled: 1-line block ×3, first 2 shown]
	v_pk_add_f32 v[134:135], v[136:137], v[134:135]
	ds_write2_b64 v65, v[132:133], v[134:135] offset1:1
	v_pk_mul_f32 v[134:135], v[184:185], s[30:31] op_sel_hi:[1,0]
	v_mov_b32_e32 v42, v138
	v_pk_fma_f32 v[132:133], v[186:187], s[14:15], v[134:135] op_sel:[0,0,1] op_sel_hi:[1,0,0]
	v_pk_fma_f32 v[134:135], v[186:187], s[14:15], v[134:135] op_sel:[0,0,1] op_sel_hi:[1,0,0] neg_lo:[0,0,1] neg_hi:[0,0,1]
	v_mov_b32_e32 v136, v132
	v_mov_b32_e32 v137, v135
	;; [unrolled: 1-line block ×3, first 2 shown]
	v_pk_mul_f32 v[138:139], v[174:175], s[20:21] op_sel_hi:[1,0]
	v_mov_b32_e32 v39, v140
	v_pk_add_f32 v[140:141], v[36:37], v[136:137]
	v_pk_fma_f32 v[136:137], v[172:173], s[18:19], v[138:139] op_sel:[0,0,1] op_sel_hi:[1,0,0]
	v_pk_fma_f32 v[138:139], v[172:173], s[18:19], v[138:139] op_sel:[0,0,1] op_sel_hi:[1,0,0] neg_lo:[0,0,1] neg_hi:[0,0,1]
	v_mov_b32_e32 v142, v136
	v_mov_b32_e32 v143, v139
	v_pk_add_f32 v[144:145], v[142:143], v[140:141]
	v_pk_mul_f32 v[142:143], v[170:171], s[28:29] op_sel_hi:[1,0]
	s_mov_b32 s40, 0x3f29c268
	v_pk_fma_f32 v[140:141], v[168:169], s[26:27], v[142:143] op_sel:[0,0,1] op_sel_hi:[1,0,0]
	v_pk_fma_f32 v[142:143], v[168:169], s[26:27], v[142:143] op_sel:[0,0,1] op_sel_hi:[1,0,0] neg_lo:[0,0,1] neg_hi:[0,0,1]
	v_mov_b32_e32 v146, v140
	v_mov_b32_e32 v147, v143
	v_pk_add_f32 v[148:149], v[146:147], v[144:145]
	v_pk_mul_f32 v[146:147], v[166:167], s[40:41] op_sel_hi:[1,0]
	s_mov_b32 s34, 0x3f7e222b
	;; [unrolled: 7-line block ×3, first 2 shown]
	v_pk_fma_f32 v[148:149], v[160:161], s[10:11], v[150:151] op_sel:[0,0,1] op_sel_hi:[1,0,0]
	v_pk_fma_f32 v[150:151], v[160:161], s[10:11], v[150:151] op_sel:[0,0,1] op_sel_hi:[1,0,0] neg_lo:[0,0,1] neg_hi:[0,0,1]
	v_mov_b32_e32 v154, v148
	v_mov_b32_e32 v155, v151
	v_pk_add_f32 v[188:189], v[154:155], v[152:153]
	v_pk_mul_f32 v[154:155], v[158:159], s[36:37] op_sel_hi:[1,0]
	v_pk_mul_f32 v[192:193], v[174:175], s[28:29] op_sel_hi:[1,0]
	v_pk_fma_f32 v[152:153], v[156:157], s[16:17], v[154:155] op_sel:[0,0,1] op_sel_hi:[1,0,0]
	v_pk_fma_f32 v[154:155], v[156:157], s[16:17], v[154:155] op_sel:[0,0,1] op_sel_hi:[1,0,0] neg_lo:[0,0,1] neg_hi:[0,0,1]
	v_mov_b32_e32 v190, v152
	v_mov_b32_e32 v191, v155
	v_pk_add_f32 v[188:189], v[190:191], v[188:189]
	v_pk_mul_f32 v[190:191], v[184:185], s[38:39] op_sel_hi:[1,0]
	s_mov_b32 s42, 0x3f6f5d39
	v_pk_fma_f32 v[202:203], v[186:187], s[10:11], v[190:191] op_sel:[0,0,1] op_sel_hi:[1,0,0]
	v_pk_fma_f32 v[190:191], v[186:187], s[10:11], v[190:191] op_sel:[0,0,1] op_sel_hi:[1,0,0] neg_lo:[0,0,1] neg_hi:[0,0,1]
	v_mov_b32_e32 v204, v202
	v_mov_b32_e32 v205, v191
	v_pk_fma_f32 v[206:207], v[172:173], s[26:27], v[192:193] op_sel:[0,0,1] op_sel_hi:[1,0,0]
	v_pk_fma_f32 v[192:193], v[172:173], s[26:27], v[192:193] op_sel:[0,0,1] op_sel_hi:[1,0,0] neg_lo:[0,0,1] neg_hi:[0,0,1]
	v_pk_mul_f32 v[194:195], v[170:171], s[42:43] op_sel_hi:[1,0]
	v_pk_add_f32 v[204:205], v[36:37], v[204:205]
	v_mov_b32_e32 v208, v206
	v_mov_b32_e32 v209, v193
	v_pk_add_f32 v[204:205], v[208:209], v[204:205]
	v_pk_fma_f32 v[208:209], v[168:169], s[18:19], v[194:195] op_sel:[0,0,1] op_sel_hi:[1,0,0]
	v_pk_fma_f32 v[194:195], v[168:169], s[18:19], v[194:195] op_sel:[0,0,1] op_sel_hi:[1,0,0] neg_lo:[0,0,1] neg_hi:[0,0,1]
	v_pk_mul_f32 v[196:197], v[166:167], s[36:37] op_sel_hi:[1,0]
	v_mov_b32_e32 v210, v208
	v_mov_b32_e32 v211, v195
	v_pk_add_f32 v[204:205], v[210:211], v[204:205]
	v_pk_fma_f32 v[210:211], v[164:165], s[16:17], v[196:197] op_sel:[0,0,1] op_sel_hi:[1,0,0]
	v_pk_fma_f32 v[196:197], v[164:165], s[16:17], v[196:197] op_sel:[0,0,1] op_sel_hi:[1,0,0] neg_lo:[0,0,1] neg_hi:[0,0,1]
	v_pk_mul_f32 v[198:199], v[162:163], s[30:31] op_sel_hi:[1,0]
	v_mov_b32_e32 v212, v210
	v_mov_b32_e32 v213, v197
	v_pk_add_f32 v[204:205], v[212:213], v[204:205]
	v_pk_fma_f32 v[212:213], v[160:161], s[14:15], v[198:199] op_sel:[0,0,1] op_sel_hi:[1,0,0]
	v_pk_fma_f32 v[198:199], v[160:161], s[14:15], v[198:199] op_sel:[0,0,1] op_sel_hi:[1,0,0] neg_lo:[0,0,1] neg_hi:[0,0,1]
	v_pk_mul_f32 v[200:201], v[158:159], s[24:25] op_sel_hi:[1,0]
	v_mov_b32_e32 v214, v212
	v_mov_b32_e32 v215, v199
	v_pk_add_f32 v[204:205], v[214:215], v[204:205]
	v_pk_fma_f32 v[214:215], v[156:157], s[22:23], v[200:201] op_sel:[0,0,1] op_sel_hi:[1,0,0]
	v_pk_fma_f32 v[200:201], v[156:157], s[22:23], v[200:201] op_sel:[0,0,1] op_sel_hi:[1,0,0] neg_lo:[0,0,1] neg_hi:[0,0,1]
	v_mov_b32_e32 v216, v214
	v_mov_b32_e32 v217, v201
	v_pk_add_f32 v[204:205], v[216:217], v[204:205]
	ds_write2_b64 v65, v[188:189], v[204:205] offset0:2 offset1:3
	v_pk_mul_f32 v[188:189], v[184:185], s[20:21] op_sel_hi:[1,0]
	v_pk_mul_f32 v[204:205], v[174:175], s[40:41] op_sel_hi:[1,0]
	v_pk_fma_f32 v[224:225], v[186:187], s[18:19], v[188:189] op_sel:[0,0,1] op_sel_hi:[1,0,0]
	v_pk_fma_f32 v[188:189], v[186:187], s[18:19], v[188:189] op_sel:[0,0,1] op_sel_hi:[1,0,0] neg_lo:[0,0,1] neg_hi:[0,0,1]
	v_mov_b32_e32 v226, v224
	v_mov_b32_e32 v227, v189
	v_pk_fma_f32 v[228:229], v[172:173], s[22:23], v[204:205] op_sel:[0,0,1] op_sel_hi:[1,0,0]
	v_pk_fma_f32 v[204:205], v[172:173], s[22:23], v[204:205] op_sel:[0,0,1] op_sel_hi:[1,0,0] neg_lo:[0,0,1] neg_hi:[0,0,1]
	v_pk_mul_f32 v[216:217], v[170:171], s[36:37] op_sel_hi:[1,0]
	v_pk_add_f32 v[226:227], v[36:37], v[226:227]
	v_mov_b32_e32 v230, v228
	v_mov_b32_e32 v231, v205
	v_pk_add_f32 v[226:227], v[230:231], v[226:227]
	v_pk_fma_f32 v[230:231], v[168:169], s[16:17], v[216:217] op_sel:[0,0,1] op_sel_hi:[1,0,0]
	v_pk_fma_f32 v[216:217], v[168:169], s[16:17], v[216:217] op_sel:[0,0,1] op_sel_hi:[1,0,0] neg_lo:[0,0,1] neg_hi:[0,0,1]
	v_pk_mul_f32 v[218:219], v[166:167], s[38:39] op_sel_hi:[1,0]
	v_mov_b32_e32 v232, v230
	v_mov_b32_e32 v233, v217
	s_mov_b32 s38, 0x3e750f2a
	v_pk_add_f32 v[226:227], v[232:233], v[226:227]
	v_pk_fma_f32 v[232:233], v[164:165], s[10:11], v[218:219] op_sel:[0,0,1] op_sel_hi:[1,0,0]
	v_pk_fma_f32 v[218:219], v[164:165], s[10:11], v[218:219] op_sel:[0,0,1] op_sel_hi:[1,0,0] neg_lo:[0,0,1] neg_hi:[0,0,1]
	v_pk_mul_f32 v[220:221], v[162:163], s[38:39] op_sel_hi:[1,0]
	v_mov_b32_e32 v234, v232
	v_mov_b32_e32 v235, v219
	s_mov_b32 s40, 0x3f52af12
	v_pk_add_f32 v[226:227], v[234:235], v[226:227]
	v_pk_fma_f32 v[234:235], v[160:161], s[26:27], v[220:221] op_sel:[0,0,1] op_sel_hi:[1,0,0]
	v_pk_fma_f32 v[220:221], v[160:161], s[26:27], v[220:221] op_sel:[0,0,1] op_sel_hi:[1,0,0] neg_lo:[0,0,1] neg_hi:[0,0,1]
	v_pk_mul_f32 v[222:223], v[158:159], s[40:41] op_sel_hi:[1,0]
	v_mov_b32_e32 v236, v234
	v_mov_b32_e32 v237, v221
	v_pk_add_f32 v[226:227], v[236:237], v[226:227]
	v_pk_fma_f32 v[236:237], v[156:157], s[14:15], v[222:223] op_sel:[0,0,1] op_sel_hi:[1,0,0]
	v_pk_fma_f32 v[222:223], v[156:157], s[14:15], v[222:223] op_sel:[0,0,1] op_sel_hi:[1,0,0] neg_lo:[0,0,1] neg_hi:[0,0,1]
	v_mov_b32_e32 v238, v236
	v_mov_b32_e32 v239, v223
	v_pk_add_f32 v[226:227], v[238:239], v[226:227]
	v_pk_mul_f32 v[238:239], v[184:185], s[24:25] op_sel_hi:[1,0]
	v_pk_mul_f32 v[240:241], v[174:175], s[34:35] op_sel_hi:[1,0]
	v_pk_fma_f32 v[250:251], v[186:187], s[22:23], v[238:239] op_sel:[0,0,1] op_sel_hi:[1,0,0]
	v_pk_fma_f32 v[238:239], v[186:187], s[22:23], v[238:239] op_sel:[0,0,1] op_sel_hi:[1,0,0] neg_lo:[0,0,1] neg_hi:[0,0,1]
	v_pk_mul_f32 v[242:243], v[170:171], s[30:31] op_sel_hi:[1,0]
	v_mov_b32_e32 v252, v250
	v_mov_b32_e32 v253, v239
	v_pk_fma_f32 v[176:177], v[172:173], s[10:11], v[240:241] op_sel:[0,0,1] op_sel_hi:[1,0,0]
	v_pk_fma_f32 v[240:241], v[172:173], s[10:11], v[240:241] op_sel:[0,0,1] op_sel_hi:[1,0,0] neg_lo:[0,0,1] neg_hi:[0,0,1]
	v_pk_mul_f32 v[244:245], v[166:167], s[38:39] op_sel_hi:[1,0]
	v_pk_add_f32 v[252:253], v[36:37], v[252:253]
	v_mov_b32_e32 v254, v176
	v_mov_b32_e32 v255, v241
	v_pk_fma_f32 v[178:179], v[168:169], s[14:15], v[242:243] op_sel:[0,0,1] op_sel_hi:[1,0,0]
	v_pk_fma_f32 v[242:243], v[168:169], s[14:15], v[242:243] op_sel:[0,0,1] op_sel_hi:[1,0,0] neg_lo:[0,0,1] neg_hi:[0,0,1]
	v_pk_mul_f32 v[246:247], v[162:163], s[36:37] op_sel_hi:[1,0]
	v_pk_add_f32 v[252:253], v[254:255], v[252:253]
	;; [unrolled: 6-line block ×3, first 2 shown]
	v_mov_b32_e32 v254, v180
	v_mov_b32_e32 v255, v245
	v_pk_fma_f32 v[182:183], v[160:161], s[16:17], v[246:247] op_sel:[0,0,1] op_sel_hi:[1,0,0]
	v_pk_fma_f32 v[246:247], v[160:161], s[16:17], v[246:247] op_sel:[0,0,1] op_sel_hi:[1,0,0] neg_lo:[0,0,1] neg_hi:[0,0,1]
	v_mov_b32_e32 v136, v38
	v_mov_b32_e32 v140, v39
	v_pk_add_f32 v[252:253], v[254:255], v[252:253]
	v_mov_b32_e32 v254, v182
	v_mov_b32_e32 v255, v247
	v_pk_fma_f32 v[38:39], v[156:157], s[18:19], v[248:249] op_sel:[0,0,1] op_sel_hi:[1,0,0]
	v_pk_fma_f32 v[248:249], v[156:157], s[18:19], v[248:249] op_sel:[0,0,1] op_sel_hi:[1,0,0] neg_lo:[0,0,1] neg_hi:[0,0,1]
	v_pk_add_f32 v[252:253], v[254:255], v[252:253]
	v_mov_b32_e32 v254, v38
	v_mov_b32_e32 v255, v249
	v_pk_add_f32 v[252:253], v[254:255], v[252:253]
	v_pk_mul_f32 v[184:185], v[184:185], s[28:29] op_sel_hi:[1,0]
	ds_write2_b64 v65, v[226:227], v[252:253] offset0:4 offset1:5
	v_pk_fma_f32 v[226:227], v[186:187], s[26:27], v[184:185] op_sel:[0,0,1] op_sel_hi:[1,0,0]
	v_pk_fma_f32 v[184:185], v[186:187], s[26:27], v[184:185] op_sel:[0,0,1] op_sel_hi:[1,0,0] neg_lo:[0,0,1] neg_hi:[0,0,1]
	v_pk_mul_f32 v[174:175], v[174:175], s[36:37] op_sel_hi:[1,0]
	v_mov_b32_e32 v186, v226
	v_mov_b32_e32 v187, v185
	v_pk_fma_f32 v[252:253], v[172:173], s[16:17], v[174:175] op_sel:[0,0,1] op_sel_hi:[1,0,0]
	v_pk_fma_f32 v[172:173], v[172:173], s[16:17], v[174:175] op_sel:[0,0,1] op_sel_hi:[1,0,0] neg_lo:[0,0,1] neg_hi:[0,0,1]
	v_pk_add_f32 v[186:187], v[36:37], v[186:187]
	v_mov_b32_e32 v174, v252
	v_mov_b32_e32 v175, v173
	v_pk_mul_f32 v[170:171], v[170:171], s[24:25] op_sel_hi:[1,0]
	v_pk_add_f32 v[174:175], v[174:175], v[186:187]
	v_pk_fma_f32 v[186:187], v[168:169], s[22:23], v[170:171] op_sel:[0,0,1] op_sel_hi:[1,0,0]
	v_pk_fma_f32 v[168:169], v[168:169], s[22:23], v[170:171] op_sel:[0,0,1] op_sel_hi:[1,0,0] neg_lo:[0,0,1] neg_hi:[0,0,1]
	v_mov_b32_e32 v170, v186
	v_mov_b32_e32 v171, v169
	v_pk_mul_f32 v[166:167], v[166:167], s[40:41] op_sel_hi:[1,0]
	v_pk_add_f32 v[170:171], v[170:171], v[174:175]
	v_pk_fma_f32 v[174:175], v[164:165], s[14:15], v[166:167] op_sel:[0,0,1] op_sel_hi:[1,0,0]
	v_pk_fma_f32 v[164:165], v[164:165], s[14:15], v[166:167] op_sel:[0,0,1] op_sel_hi:[1,0,0] neg_lo:[0,0,1] neg_hi:[0,0,1]
	;; [unrolled: 6-line block ×4, first 2 shown]
	v_mov_b32_e32 v158, v166
	v_mov_b32_e32 v159, v157
	;; [unrolled: 1-line block ×3, first 2 shown]
	v_pk_add_f32 v[158:159], v[158:159], v[162:163]
	v_pk_add_f32 v[162:163], v[36:37], v[184:185]
	v_mov_b32_e32 v173, v253
	v_pk_add_f32 v[162:163], v[172:173], v[162:163]
	v_mov_b32_e32 v169, v187
	;; [unrolled: 2-line block ×6, first 2 shown]
	ds_write2_b64 v65, v[158:159], v[156:157] offset0:6 offset1:7
	v_pk_add_f32 v[156:157], v[36:37], v[238:239]
	v_mov_b32_e32 v241, v177
	v_pk_add_f32 v[156:157], v[240:241], v[156:157]
	v_mov_b32_e32 v243, v179
	;; [unrolled: 2-line block ×5, first 2 shown]
	v_mov_b32_e32 v189, v225
	v_pk_add_f32 v[38:39], v[248:249], v[156:157]
	v_pk_add_f32 v[156:157], v[36:37], v[188:189]
	v_mov_b32_e32 v205, v229
	v_pk_add_f32 v[156:157], v[204:205], v[156:157]
	v_mov_b32_e32 v217, v231
	;; [unrolled: 2-line block ×5, first 2 shown]
	v_mov_b32_e32 v135, v133
	v_pk_add_f32 v[156:157], v[222:223], v[156:157]
	v_mov_b32_e32 v191, v203
	v_pk_add_f32 v[132:133], v[36:37], v[134:135]
	v_mov_b32_e32 v139, v137
	v_mov_b32_e32 v137, v41
	v_accvgpr_read_b32 v41, a3
	ds_write2_b64 v65, v[38:39], v[156:157] offset0:8 offset1:9
	v_pk_add_f32 v[38:39], v[36:37], v[190:191]
	v_mov_b32_e32 v193, v207
	v_pk_add_f32 v[132:133], v[138:139], v[132:133]
	v_mov_b32_e32 v139, v45
	;; [unrolled: 2-line block ×4, first 2 shown]
	v_mov_b32_e32 v143, v141
	v_pk_add_f32 v[36:37], v[44:45], v[36:37]
	v_mov_b32_e32 v49, v47
	v_pk_add_f32 v[38:39], v[194:195], v[38:39]
	;; [unrolled: 2-line block ×11, first 2 shown]
	v_accvgpr_read_b32 v135, a1
	v_accvgpr_read_b32 v134, a0
	v_mov_b32_e32 v138, v42
	v_pk_add_f32 v[132:133], v[154:155], v[132:133]
	v_pk_add_f32 v[36:37], v[66:67], v[36:37]
	ds_write2_b64 v65, v[38:39], v[132:133] offset0:10 offset1:11
	ds_write_b64 v65, v[36:37] offset:96
.LBB0_13:
	s_or_b64 exec, exec, s[0:1]
	v_add_u32_e32 v65, 0x1c00, v61
	s_waitcnt lgkmcnt(0)
	s_barrier
	ds_read2_b64 v[36:39], v65 offset0:40 offset1:196
	v_add_u32_e32 v133, 0x3000, v61
	ds_read2_b64 v[44:47], v133 offset0:24 offset1:180
	v_add_u32_e32 v132, 0x800, v61
	ds_read2_b64 v[40:43], v132 offset0:56 offset1:212
	s_waitcnt lgkmcnt(2)
	v_pk_mul_f32 v[12:13], v[12:13], v[38:39]
	v_pk_mul_f32 v[8:9], v[8:9], v[36:37]
	v_pk_fma_f32 v[48:49], v[130:131], v[38:39], v[12:13] op_sel:[0,0,1] op_sel_hi:[1,1,0]
	v_pk_fma_f32 v[12:13], v[130:131], v[38:39], v[12:13] op_sel:[0,0,1] op_sel_hi:[1,1,0] neg_lo:[0,0,1] neg_hi:[0,0,1]
	v_pk_fma_f32 v[54:55], v[126:127], v[36:37], v[8:9] op_sel:[0,0,1] op_sel_hi:[1,1,0]
	v_mov_b32_e32 v49, v13
	s_waitcnt lgkmcnt(1)
	v_pk_mul_f32 v[12:13], v[14:15], v[46:47]
	v_pk_fma_f32 v[8:9], v[126:127], v[36:37], v[8:9] op_sel:[0,0,1] op_sel_hi:[1,1,0] neg_lo:[0,0,1] neg_hi:[0,0,1]
	v_pk_fma_f32 v[50:51], v[128:129], v[46:47], v[12:13] op_sel:[0,0,1] op_sel_hi:[1,1,0]
	v_pk_fma_f32 v[12:13], v[128:129], v[46:47], v[12:13] op_sel:[0,0,1] op_sel_hi:[1,1,0] neg_lo:[0,0,1] neg_hi:[0,0,1]
	v_mov_b32_e32 v55, v9
	v_pk_mul_f32 v[8:9], v[10:11], v[44:45]
	v_mov_b32_e32 v51, v13
	v_pk_fma_f32 v[56:57], v[124:125], v[44:45], v[8:9] op_sel:[0,0,1] op_sel_hi:[1,1,0]
	v_pk_fma_f32 v[8:9], v[124:125], v[44:45], v[8:9] op_sel:[0,0,1] op_sel_hi:[1,1,0] neg_lo:[0,0,1] neg_hi:[0,0,1]
	v_pk_add_f32 v[12:13], v[48:49], v[50:51]
	v_pk_add_f32 v[14:15], v[48:49], v[50:51] neg_lo:[0,1] neg_hi:[0,1]
	s_mov_b32 s0, 0x3f5db3d7
	v_mov_b32_e32 v57, v9
	s_waitcnt lgkmcnt(0)
	v_pk_fma_f32 v[12:13], v[12:13], 0.5, v[42:43] op_sel_hi:[1,0,1] neg_lo:[1,0,0] neg_hi:[1,0,0]
	v_pk_mul_f32 v[14:15], v[14:15], s[0:1] op_sel_hi:[1,0]
	v_pk_add_f32 v[8:9], v[54:55], v[56:57]
	v_pk_add_f32 v[46:47], v[12:13], v[14:15] op_sel:[0,1] op_sel_hi:[1,0]
	v_pk_add_f32 v[52:53], v[12:13], v[14:15] op_sel:[0,1] op_sel_hi:[1,0] neg_lo:[0,1] neg_hi:[0,1]
	v_pk_fma_f32 v[12:13], v[8:9], 0.5, v[40:41] op_sel_hi:[1,0,1] neg_lo:[1,0,0] neg_hi:[1,0,0]
	v_pk_add_f32 v[8:9], v[54:55], v[56:57] neg_lo:[0,1] neg_hi:[0,1]
	v_add_u32_e32 v124, 0x1200, v61
	v_pk_mul_f32 v[14:15], v[8:9], s[0:1] op_sel_hi:[1,0]
	ds_read2_b64 v[8:11], v124 offset0:48 offset1:204
	v_add_u32_e32 v125, 0x2400, v61
	ds_read2_b64 v[36:39], v125 offset0:96 offset1:252
	v_pk_add_f32 v[44:45], v[12:13], v[14:15] op_sel:[0,1] op_sel_hi:[1,0]
	v_pk_add_f32 v[58:59], v[12:13], v[14:15] op_sel:[0,1] op_sel_hi:[1,0] neg_lo:[0,1] neg_hi:[0,1]
	s_waitcnt lgkmcnt(1)
	v_pk_mul_f32 v[4:5], v[4:5], v[10:11]
	ds_read2_b64 v[12:15], v61 offset1:156
	v_pk_fma_f32 v[66:67], v[122:123], v[10:11], v[4:5] op_sel:[0,0,1] op_sel_hi:[1,1,0]
	v_pk_fma_f32 v[4:5], v[122:123], v[10:11], v[4:5] op_sel:[0,0,1] op_sel_hi:[1,1,0] neg_lo:[0,0,1] neg_hi:[0,0,1]
	v_pk_mul_f32 v[0:1], v[0:1], v[8:9]
	v_mov_b32_e32 v67, v5
	s_waitcnt lgkmcnt(1)
	v_pk_mul_f32 v[4:5], v[6:7], v[38:39]
	s_waitcnt lgkmcnt(0)
	v_pk_fma_f32 v[6:7], v[120:121], v[38:39], v[4:5] op_sel:[0,0,1] op_sel_hi:[1,1,0]
	v_pk_fma_f32 v[4:5], v[120:121], v[38:39], v[4:5] op_sel:[0,0,1] op_sel_hi:[1,1,0] neg_lo:[0,0,1] neg_hi:[0,0,1]
	s_barrier
	v_mov_b32_e32 v7, v5
	v_pk_add_f32 v[4:5], v[66:67], v[6:7]
	v_pk_add_f32 v[10:11], v[66:67], v[6:7] neg_lo:[0,1] neg_hi:[0,1]
	v_pk_fma_f32 v[4:5], v[4:5], 0.5, v[14:15] op_sel_hi:[1,0,1] neg_lo:[1,0,0] neg_hi:[1,0,0]
	v_pk_mul_f32 v[10:11], v[10:11], s[0:1] op_sel_hi:[1,0]
	s_nop 0
	v_pk_add_f32 v[38:39], v[4:5], v[10:11] op_sel:[0,1] op_sel_hi:[1,0]
	v_pk_add_f32 v[4:5], v[4:5], v[10:11] op_sel:[0,1] op_sel_hi:[1,0] neg_lo:[0,1] neg_hi:[0,1]
	v_pk_fma_f32 v[10:11], v[118:119], v[8:9], v[0:1] op_sel:[0,0,1] op_sel_hi:[1,1,0]
	v_pk_fma_f32 v[0:1], v[118:119], v[8:9], v[0:1] op_sel:[0,0,1] op_sel_hi:[1,1,0] neg_lo:[0,0,1] neg_hi:[0,0,1]
	s_mov_b32 s14, 0.5
	v_mov_b32_e32 v11, v1
	v_pk_mul_f32 v[0:1], v[2:3], v[36:37]
	s_mov_b32 s15, s0
	v_pk_fma_f32 v[2:3], v[116:117], v[36:37], v[0:1] op_sel:[0,0,1] op_sel_hi:[1,1,0]
	v_pk_fma_f32 v[0:1], v[116:117], v[36:37], v[0:1] op_sel:[0,0,1] op_sel_hi:[1,1,0] neg_lo:[0,0,1] neg_hi:[0,0,1]
	s_mov_b32 s10, -0.5
	v_mov_b32_e32 v3, v1
	v_pk_add_f32 v[0:1], v[12:13], v[10:11]
	v_pk_add_f32 v[8:9], v[10:11], v[2:3]
	v_pk_add_f32 v[0:1], v[0:1], v[2:3]
	v_pk_add_f32 v[2:3], v[10:11], v[2:3] neg_lo:[0,1] neg_hi:[0,1]
	v_pk_fma_f32 v[8:9], v[8:9], 0.5, v[12:13] op_sel_hi:[1,0,1] neg_lo:[1,0,0] neg_hi:[1,0,0]
	v_pk_mul_f32 v[2:3], v[2:3], s[0:1] op_sel_hi:[1,0]
	s_mov_b32 s11, s0
	v_pk_add_f32 v[10:11], v[8:9], v[2:3] op_sel:[0,1] op_sel_hi:[1,0] neg_lo:[0,1] neg_hi:[0,1]
	v_pk_add_f32 v[2:3], v[8:9], v[2:3] op_sel:[0,1] op_sel_hi:[1,0]
	v_mov_b32_e32 v8, v10
	v_mov_b32_e32 v9, v3
	ds_write2_b64 v137, v[0:1], v[8:9] offset1:13
	v_mov_b32_e32 v3, v11
	v_pk_add_f32 v[0:1], v[14:15], v[66:67]
	ds_write_b64 v137, v[2:3] offset:208
	v_pk_add_f32 v[0:1], v[0:1], v[6:7]
	v_mov_b32_e32 v2, v4
	v_mov_b32_e32 v3, v39
	ds_write2_b64 v136, v[0:1], v[2:3] offset1:13
	v_pk_add_f32 v[0:1], v[40:41], v[54:55]
	v_mov_b32_e32 v39, v5
	v_pk_add_f32 v[0:1], v[0:1], v[56:57]
	v_mov_b32_e32 v2, v58
	v_mov_b32_e32 v3, v45
	ds_write_b64 v136, v[38:39] offset:208
	ds_write2_b64 v135, v[0:1], v[2:3] offset1:13
	v_pk_add_f32 v[0:1], v[42:43], v[48:49]
	v_mov_b32_e32 v45, v59
	v_pk_add_f32 v[0:1], v[0:1], v[50:51]
	v_mov_b32_e32 v2, v52
	v_mov_b32_e32 v3, v47
	;; [unrolled: 1-line block ×3, first 2 shown]
	ds_write_b64 v135, v[44:45] offset:208
	ds_write2_b64 v134, v[0:1], v[2:3] offset1:13
	ds_write_b64 v134, v[46:47] offset:208
	s_waitcnt lgkmcnt(0)
	s_barrier
	ds_read2_b64 v[0:3], v124 offset0:48 offset1:204
	ds_read2_b64 v[4:7], v133 offset0:24 offset1:180
	;; [unrolled: 1-line block ×4, first 2 shown]
	s_waitcnt lgkmcnt(3)
	v_mov_b32_e32 v36, v3
	v_pk_mul_f32 v[38:39], v[32:33], v[2:3] op_sel_hi:[1,0]
	v_mov_b32_e32 v42, v1
	v_pk_fma_f32 v[40:41], v[32:33], v[36:37], v[38:39] op_sel:[0,0,1] op_sel_hi:[1,1,0] neg_lo:[0,0,1] neg_hi:[0,0,1]
	v_pk_fma_f32 v[2:3], v[32:33], v[2:3], v[38:39] op_sel:[0,1,1] op_sel_hi:[1,1,0]
	v_pk_mul_f32 v[44:45], v[28:29], v[0:1] op_sel_hi:[1,0]
	v_mov_b32_e32 v41, v3
	s_waitcnt lgkmcnt(0)
	v_pk_mul_f32 v[2:3], v[34:35], v[12:13]
	v_pk_fma_f32 v[42:43], v[28:29], v[42:43], v[44:45] op_sel:[0,0,1] op_sel_hi:[1,1,0] neg_lo:[0,0,1] neg_hi:[0,0,1]
	v_pk_fma_f32 v[32:33], v[114:115], v[12:13], v[2:3] op_sel:[0,0,1] op_sel_hi:[1,1,0]
	v_pk_fma_f32 v[2:3], v[114:115], v[12:13], v[2:3] op_sel:[0,0,1] op_sel_hi:[1,1,0] neg_lo:[0,0,1] neg_hi:[0,0,1]
	v_pk_mul_f32 v[12:13], v[72:73], v[6:7] op_sel_hi:[1,0]
	v_mov_b32_e32 v2, v7
	v_mov_b32_e32 v33, v3
	v_pk_fma_f32 v[2:3], v[72:73], v[2:3], v[12:13] op_sel:[0,0,1] op_sel_hi:[1,1,0] neg_lo:[0,0,1] neg_hi:[0,0,1]
	v_pk_fma_f32 v[6:7], v[72:73], v[6:7], v[12:13] op_sel:[0,1,1] op_sel_hi:[1,1,0]
	v_pk_fma_f32 v[0:1], v[28:29], v[0:1], v[44:45] op_sel:[0,1,1] op_sel_hi:[1,1,0]
	v_mov_b32_e32 v3, v7
	v_pk_add_f32 v[6:7], v[8:9], v[32:33] neg_lo:[0,1] neg_hi:[0,1]
	v_pk_add_f32 v[2:3], v[40:41], v[2:3] neg_lo:[0,1] neg_hi:[0,1]
	v_mov_b32_e32 v43, v1
	v_pk_add_f32 v[12:13], v[6:7], v[2:3]
	v_pk_add_f32 v[32:33], v[6:7], v[2:3] neg_lo:[0,1] neg_hi:[0,1]
	v_pk_mul_f32 v[24:25], v[24:25], v[10:11]
	v_mov_b32_e32 v13, v33
	ds_read2_b64 v[32:35], v61 offset1:156
	ds_read2_b64 v[36:39], v65 offset0:40 offset1:196
	s_waitcnt lgkmcnt(0)
	s_barrier
	v_pk_fma_f32 v[2:3], v[40:41], 2.0, v[2:3] op_sel_hi:[1,0,1] neg_lo:[0,0,1] neg_hi:[0,0,1]
	v_pk_mul_f32 v[0:1], v[30:31], v[38:39]
	v_pk_mul_f32 v[30:31], v[70:71], v[4:5] op_sel_hi:[1,0]
	v_pk_fma_f32 v[28:29], v[112:113], v[38:39], v[0:1] op_sel:[0,0,1] op_sel_hi:[1,1,0]
	v_pk_fma_f32 v[0:1], v[112:113], v[38:39], v[0:1] op_sel:[0,0,1] op_sel_hi:[1,1,0] neg_lo:[0,0,1] neg_hi:[0,0,1]
	s_nop 0
	v_mov_b32_e32 v0, v5
	v_mov_b32_e32 v29, v1
	v_pk_fma_f32 v[0:1], v[70:71], v[0:1], v[30:31] op_sel:[0,0,1] op_sel_hi:[1,1,0] neg_lo:[0,0,1] neg_hi:[0,0,1]
	v_pk_fma_f32 v[4:5], v[70:71], v[4:5], v[30:31] op_sel:[0,1,1] op_sel_hi:[1,1,0]
	s_nop 0
	v_mov_b32_e32 v1, v5
	v_pk_add_f32 v[4:5], v[34:35], v[28:29] neg_lo:[0,1] neg_hi:[0,1]
	v_pk_add_f32 v[0:1], v[42:43], v[0:1] neg_lo:[0,1] neg_hi:[0,1]
	s_nop 0
	v_pk_add_f32 v[28:29], v[4:5], v[0:1]
	v_pk_add_f32 v[30:31], v[4:5], v[0:1] neg_lo:[0,1] neg_hi:[0,1]
	v_pk_fma_f32 v[0:1], v[42:43], 2.0, v[0:1] op_sel_hi:[1,0,1] neg_lo:[0,0,1] neg_hi:[0,0,1]
	v_mov_b32_e32 v29, v31
	v_pk_fma_f32 v[30:31], v[110:111], v[10:11], v[24:25] op_sel:[0,0,1] op_sel_hi:[1,1,0]
	v_pk_fma_f32 v[10:11], v[110:111], v[10:11], v[24:25] op_sel:[0,0,1] op_sel_hi:[1,1,0] neg_lo:[0,0,1] neg_hi:[0,0,1]
	s_nop 0
	v_mov_b32_e32 v31, v11
	v_pk_mul_f32 v[10:11], v[26:27], v[36:37]
	s_nop 0
	v_pk_fma_f32 v[24:25], v[108:109], v[36:37], v[10:11] op_sel:[0,0,1] op_sel_hi:[1,1,0]
	v_pk_fma_f32 v[10:11], v[108:109], v[36:37], v[10:11] op_sel:[0,0,1] op_sel_hi:[1,1,0] neg_lo:[0,0,1] neg_hi:[0,0,1]
	s_nop 0
	v_mov_b32_e32 v25, v11
	v_pk_mul_f32 v[10:11], v[68:69], v[14:15]
	s_nop 0
	v_pk_fma_f32 v[26:27], v[106:107], v[14:15], v[10:11] op_sel:[0,0,1] op_sel_hi:[1,1,0]
	v_pk_fma_f32 v[10:11], v[106:107], v[14:15], v[10:11] op_sel:[0,0,1] op_sel_hi:[1,1,0] neg_lo:[0,0,1] neg_hi:[0,0,1]
	s_nop 0
	v_mov_b32_e32 v27, v11
	v_pk_add_f32 v[10:11], v[32:33], v[24:25] neg_lo:[0,1] neg_hi:[0,1]
	v_pk_add_f32 v[24:25], v[30:31], v[26:27] neg_lo:[0,1] neg_hi:[0,1]
	v_pk_fma_f32 v[14:15], v[32:33], 2.0, v[10:11] op_sel_hi:[1,0,1] neg_lo:[0,0,1] neg_hi:[0,0,1]
	v_pk_fma_f32 v[26:27], v[30:31], 2.0, v[24:25] op_sel_hi:[1,0,1] neg_lo:[0,0,1] neg_hi:[0,0,1]
	v_pk_add_f32 v[30:31], v[10:11], v[24:25] op_sel:[0,1] op_sel_hi:[1,0]
	v_pk_add_f32 v[24:25], v[10:11], v[24:25] op_sel:[0,1] op_sel_hi:[1,0] neg_lo:[0,1] neg_hi:[0,1]
	v_pk_add_f32 v[26:27], v[14:15], v[26:27] neg_lo:[0,1] neg_hi:[0,1]
	v_mov_b32_e32 v31, v25
	v_pk_fma_f32 v[14:15], v[14:15], 2.0, v[26:27] op_sel_hi:[1,0,1] neg_lo:[0,0,1] neg_hi:[0,0,1]
	v_pk_fma_f32 v[10:11], v[10:11], 2.0, v[30:31] op_sel_hi:[1,0,1] neg_lo:[0,0,1] neg_hi:[0,0,1]
	ds_write2_b64 v140, v[14:15], v[10:11] offset1:39
	ds_write2_b64 v140, v[26:27], v[30:31] offset0:78 offset1:117
	v_pk_fma_f32 v[10:11], v[4:5], 2.0, v[28:29] op_sel_hi:[1,0,1] neg_lo:[0,0,1] neg_hi:[0,0,1]
	v_pk_fma_f32 v[4:5], v[34:35], 2.0, v[4:5] op_sel_hi:[1,0,1] neg_lo:[0,0,1] neg_hi:[0,0,1]
	s_nop 0
	v_pk_add_f32 v[0:1], v[4:5], v[0:1] op_sel:[0,1] op_sel_hi:[1,0] neg_lo:[0,1] neg_hi:[0,1]
	s_nop 0
	v_pk_fma_f32 v[4:5], v[4:5], 2.0, v[0:1] op_sel_hi:[1,0,1] neg_lo:[0,0,1] neg_hi:[0,0,1]
	ds_write2_b64 v139, v[4:5], v[10:11] offset1:39
	ds_write2_b64 v139, v[0:1], v[28:29] offset0:78 offset1:117
	v_pk_fma_f32 v[4:5], v[8:9], 2.0, v[6:7] op_sel_hi:[1,0,1] neg_lo:[0,0,1] neg_hi:[0,0,1]
	v_pk_fma_f32 v[0:1], v[6:7], 2.0, v[12:13] op_sel_hi:[1,0,1] neg_lo:[0,0,1] neg_hi:[0,0,1]
	v_pk_add_f32 v[2:3], v[4:5], v[2:3] op_sel:[0,1] op_sel_hi:[1,0] neg_lo:[0,1] neg_hi:[0,1]
	s_nop 0
	v_pk_fma_f32 v[4:5], v[4:5], 2.0, v[2:3] op_sel_hi:[1,0,1] neg_lo:[0,0,1] neg_hi:[0,0,1]
	ds_write2_b64 v138, v[4:5], v[0:1] offset1:39
	ds_write2_b64 v138, v[2:3], v[12:13] offset0:78 offset1:117
	s_waitcnt lgkmcnt(0)
	s_barrier
	ds_read2_b64 v[0:3], v61 offset1:156
	ds_read2_b64 v[4:7], v132 offset0:56 offset1:212
	ds_read2_b64 v[8:11], v124 offset0:48 offset1:204
	;; [unrolled: 1-line block ×5, first 2 shown]
	s_waitcnt lgkmcnt(4)
	v_pk_mul_f32 v[32:33], v[78:79], v[4:5]
	s_waitcnt lgkmcnt(0)
	v_pk_fma_f32 v[34:35], v[20:21], v[4:5], v[32:33] op_sel:[0,0,1] op_sel_hi:[1,1,0]
	v_pk_fma_f32 v[4:5], v[20:21], v[4:5], v[32:33] op_sel:[0,0,1] op_sel_hi:[1,1,0] neg_lo:[0,0,1] neg_hi:[0,0,1]
	v_pk_mul_f32 v[32:33], v[80:81], v[8:9]
	v_mov_b32_e32 v35, v5
	v_pk_fma_f32 v[36:37], v[22:23], v[8:9], v[32:33] op_sel:[0,0,1] op_sel_hi:[1,1,0]
	v_pk_fma_f32 v[8:9], v[22:23], v[8:9], v[32:33] op_sel:[0,0,1] op_sel_hi:[1,1,0] neg_lo:[0,0,1] neg_hi:[0,0,1]
	v_mov_b32_e32 v4, v34
	v_mov_b32_e32 v37, v9
	v_pk_mul_f32 v[8:9], v[76:77], v[12:13]
	s_barrier
	v_pk_fma_f32 v[32:33], v[16:17], v[12:13], v[8:9] op_sel:[0,0,1] op_sel_hi:[1,1,0]
	v_pk_fma_f32 v[8:9], v[16:17], v[12:13], v[8:9] op_sel:[0,0,1] op_sel_hi:[1,1,0] neg_lo:[0,0,1] neg_hi:[0,0,1]
	s_nop 0
	v_mov_b32_e32 v33, v9
	v_pk_mul_f32 v[8:9], v[82:83], v[24:25]
	s_nop 0
	v_pk_fma_f32 v[12:13], v[18:19], v[24:25], v[8:9] op_sel:[0,0,1] op_sel_hi:[1,1,0]
	v_pk_fma_f32 v[8:9], v[18:19], v[24:25], v[8:9] op_sel:[0,0,1] op_sel_hi:[1,1,0] neg_lo:[0,0,1] neg_hi:[0,0,1]
	s_nop 0
	v_mov_b32_e32 v13, v9
	v_pk_mul_f32 v[8:9], v[74:75], v[28:29]
	s_nop 0
	v_pk_fma_f32 v[24:25], v[104:105], v[28:29], v[8:9] op_sel:[0,0,1] op_sel_hi:[1,1,0]
	v_pk_fma_f32 v[8:9], v[104:105], v[28:29], v[8:9] op_sel:[0,0,1] op_sel_hi:[1,1,0] neg_lo:[0,0,1] neg_hi:[0,0,1]
	s_nop 0
	v_mov_b32_e32 v25, v9
	v_pk_add_f32 v[28:29], v[32:33], v[24:25]
	v_pk_add_f32 v[8:9], v[0:1], v[36:37]
	v_fmac_f32_e32 v4, -0.5, v28
	v_pk_add_f32 v[38:39], v[32:33], v[24:25] neg_lo:[0,1] neg_hi:[0,1]
	v_pk_add_f32 v[32:33], v[34:35], v[32:33]
	v_fmac_f32_e32 v5, -0.5, v29
	v_pk_add_f32 v[8:9], v[8:9], v[12:13]
	v_fmamk_f32 v28, v39, 0xbf5db3d7, v4
	v_fmac_f32_e32 v4, 0x3f5db3d7, v39
	v_pk_add_f32 v[24:25], v[32:33], v[24:25]
	v_fmamk_f32 v32, v38, 0x3f5db3d7, v5
	v_fmac_f32_e32 v5, 0xbf5db3d7, v38
	v_pk_add_f32 v[38:39], v[36:37], v[12:13]
	v_pk_add_f32 v[12:13], v[36:37], v[12:13] neg_lo:[0,1] neg_hi:[0,1]
	v_pk_fma_f32 v[0:1], v[38:39], 0.5, v[0:1] op_sel_hi:[1,0,1] neg_lo:[1,0,0] neg_hi:[1,0,0]
	v_pk_mul_f32 v[12:13], v[12:13], s[0:1] op_sel_hi:[1,0]
	s_mov_b32 s1, s14
	v_pk_mul_f32 v[32:33], v[32:33], s[0:1] op_sel_hi:[0,1]
	v_pk_fma_f32 v[38:39], v[28:29], s[14:15], v[32:33] neg_lo:[0,0,1] neg_hi:[0,0,1]
	v_pk_fma_f32 v[28:29], v[28:29], s[14:15], v[32:33] op_sel_hi:[0,1,1]
	v_mov_b32_e32 v32, v5
	v_pk_add_f32 v[36:37], v[0:1], v[12:13] op_sel:[0,1] op_sel_hi:[1,0] neg_lo:[0,1] neg_hi:[0,1]
	v_pk_add_f32 v[0:1], v[0:1], v[12:13] op_sel:[0,1] op_sel_hi:[1,0]
	v_pk_mul_f32 v[32:33], v[32:33], s[0:1] op_sel_hi:[0,1]
	v_mov_b32_e32 v13, v1
	v_pk_fma_f32 v[4:5], v[4:5], s[10:11], v[32:33] op_sel_hi:[0,1,1] neg_lo:[0,0,1] neg_hi:[0,0,1]
	v_mov_b32_e32 v1, v37
	v_pk_add_f32 v[32:33], v[0:1], v[4:5]
	v_pk_add_f32 v[0:1], v[0:1], v[4:5] neg_lo:[0,1] neg_hi:[0,1]
	v_pk_mul_f32 v[4:5], v[80:81], v[10:11]
	v_pk_add_f32 v[34:35], v[8:9], v[24:25]
	v_pk_add_f32 v[8:9], v[8:9], v[24:25] neg_lo:[0,1] neg_hi:[0,1]
	v_pk_fma_f32 v[24:25], v[22:23], v[10:11], v[4:5] op_sel:[0,0,1] op_sel_hi:[1,1,0]
	v_pk_fma_f32 v[4:5], v[22:23], v[10:11], v[4:5] op_sel:[0,0,1] op_sel_hi:[1,1,0] neg_lo:[0,0,1] neg_hi:[0,0,1]
	v_mov_b32_e32 v12, v36
	v_mov_b32_e32 v25, v5
	v_pk_mul_f32 v[4:5], v[82:83], v[26:27]
	v_mov_b32_e32 v39, v29
	v_pk_fma_f32 v[10:11], v[18:19], v[26:27], v[4:5] op_sel:[0,0,1] op_sel_hi:[1,1,0]
	v_pk_fma_f32 v[4:5], v[18:19], v[26:27], v[4:5] op_sel:[0,0,1] op_sel_hi:[1,1,0] neg_lo:[0,0,1] neg_hi:[0,0,1]
	v_pk_mul_f32 v[26:27], v[78:79], v[6:7]
	v_mov_b32_e32 v11, v5
	v_pk_fma_f32 v[36:37], v[20:21], v[6:7], v[26:27] op_sel:[0,0,1] op_sel_hi:[1,1,0]
	v_pk_fma_f32 v[6:7], v[20:21], v[6:7], v[26:27] op_sel:[0,0,1] op_sel_hi:[1,1,0] neg_lo:[0,0,1] neg_hi:[0,0,1]
	v_pk_mul_f32 v[20:21], v[76:77], v[14:15]
	v_pk_add_f32 v[4:5], v[24:25], v[10:11]
	v_pk_fma_f32 v[26:27], v[16:17], v[14:15], v[20:21] op_sel:[0,0,1] op_sel_hi:[1,1,0]
	v_pk_fma_f32 v[14:15], v[16:17], v[14:15], v[20:21] op_sel:[0,0,1] op_sel_hi:[1,1,0] neg_lo:[0,0,1] neg_hi:[0,0,1]
	v_pk_add_f32 v[18:19], v[24:25], v[10:11] neg_lo:[0,1] neg_hi:[0,1]
	v_mov_b32_e32 v27, v15
	v_pk_mul_f32 v[14:15], v[74:75], v[30:31]
	v_pk_fma_f32 v[4:5], v[4:5], 0.5, v[2:3] op_sel_hi:[1,0,1] neg_lo:[1,0,0] neg_hi:[1,0,0]
	v_pk_fma_f32 v[16:17], v[104:105], v[30:31], v[14:15] op_sel:[0,0,1] op_sel_hi:[1,1,0]
	v_pk_fma_f32 v[14:15], v[104:105], v[30:31], v[14:15] op_sel:[0,0,1] op_sel_hi:[1,1,0] neg_lo:[0,0,1] neg_hi:[0,0,1]
	v_pk_mul_f32 v[18:19], v[18:19], s[0:1] op_sel_hi:[1,0]
	v_mov_b32_e32 v17, v15
	v_pk_add_f32 v[22:23], v[4:5], v[18:19] op_sel:[0,1] op_sel_hi:[1,0] neg_lo:[0,1] neg_hi:[0,1]
	v_pk_add_f32 v[4:5], v[18:19], v[4:5] op_sel:[1,0] op_sel_hi:[0,1]
	v_pk_add_f32 v[14:15], v[26:27], v[16:17]
	v_mov_b32_e32 v18, v4
	v_mov_b32_e32 v37, v7
	;; [unrolled: 1-line block ×3, first 2 shown]
	v_pk_add_f32 v[20:21], v[26:27], v[16:17] neg_lo:[0,1] neg_hi:[0,1]
	v_fmac_f32_e32 v7, -0.5, v15
	v_fmac_f32_e32 v4, -0.5, v14
	v_fmamk_f32 v14, v20, 0x3f5db3d7, v7
	v_fmac_f32_e32 v7, 0xbf5db3d7, v20
	v_pk_add_f32 v[2:3], v[2:3], v[24:25]
	v_fmamk_f32 v6, v21, 0xbf5db3d7, v4
	v_pk_add_f32 v[26:27], v[36:37], v[26:27]
	v_mul_f32_e32 v15, 0xbf5db3d7, v14
	v_mul_f32_e32 v20, 0.5, v14
	v_pk_add_f32 v[2:3], v[2:3], v[10:11]
	v_mov_b32_e32 v10, v7
	v_pk_add_f32 v[28:29], v[12:13], v[38:39]
	v_fmac_f32_e32 v4, 0x3f5db3d7, v21
	v_pk_add_f32 v[16:17], v[26:27], v[16:17]
	v_fmac_f32_e32 v15, 0.5, v6
	v_fmac_f32_e32 v20, 0x3f5db3d7, v6
	v_pk_mul_f32 v[10:11], v[10:11], s[0:1] op_sel_hi:[0,1]
	v_pk_add_f32 v[12:13], v[12:13], v[38:39] neg_lo:[0,1] neg_hi:[0,1]
	v_mov_b32_e32 v19, v23
	v_add_f32_e32 v6, v22, v15
	v_pk_fma_f32 v[10:11], v[4:5], s[10:11], v[10:11] op_sel_hi:[0,1,1] neg_lo:[0,0,1] neg_hi:[0,0,1]
	v_add_f32_e32 v7, v5, v20
	ds_write2_b64 v61, v[34:35], v[28:29] offset1:156
	ds_write2_b64 v132, v[32:33], v[8:9] offset0:56 offset1:212
	ds_write2_b64 v124, v[12:13], v[0:1] offset0:48 offset1:204
	v_pk_add_f32 v[0:1], v[2:3], v[16:17]
	v_sub_f32_e32 v4, v22, v15
	v_pk_add_f32 v[14:15], v[2:3], v[16:17] neg_lo:[0,1] neg_hi:[0,1]
	ds_write2_b64 v65, v[0:1], v[6:7] offset0:40 offset1:196
	v_pk_add_f32 v[0:1], v[18:19], v[10:11]
	v_sub_f32_e32 v5, v5, v20
	v_pk_add_f32 v[20:21], v[18:19], v[10:11] neg_lo:[0,1] neg_hi:[0,1]
	ds_write2_b64 v125, v[0:1], v[14:15] offset0:96 offset1:252
	ds_write2_b64 v133, v[4:5], v[20:21] offset0:24 offset1:180
	s_waitcnt lgkmcnt(0)
	s_barrier
	ds_read2_b64 v[0:3], v65 offset0:40 offset1:196
	ds_read2_b64 v[4:7], v61 offset1:156
	s_movk_i32 s10, 0x3000
	s_waitcnt lgkmcnt(1)
	v_pk_mul_f32 v[8:9], v[92:93], v[0:1]
	s_nop 0
	v_pk_fma_f32 v[10:11], v[102:103], v[0:1], v[8:9] op_sel:[0,0,1] op_sel_hi:[1,1,0]
	v_pk_fma_f32 v[0:1], v[102:103], v[0:1], v[8:9] op_sel:[0,0,1] op_sel_hi:[1,1,0] neg_lo:[0,0,1] neg_hi:[0,0,1]
	s_nop 0
	v_mov_b32_e32 v11, v1
	s_waitcnt lgkmcnt(0)
	v_pk_add_f32 v[8:9], v[4:5], v[10:11] neg_lo:[0,1] neg_hi:[0,1]
	v_pk_mul_f32 v[0:1], v[86:87], v[2:3] op_sel:[1,0]
	v_pk_fma_f32 v[10:11], v[4:5], 2.0, v[8:9] op_sel_hi:[1,0,1] neg_lo:[0,0,1] neg_hi:[0,0,1]
	v_pk_fma_f32 v[4:5], v[86:87], v[2:3], v[0:1] op_sel:[0,0,1] op_sel_hi:[1,1,0]
	v_pk_fma_f32 v[12:13], v[86:87], v[2:3], v[0:1] op_sel:[0,0,1] op_sel_hi:[0,1,0] neg_lo:[0,0,1] neg_hi:[0,0,1]
	ds_read2_b64 v[0:3], v125 offset0:96 offset1:252
	v_mov_b32_e32 v5, v13
	v_pk_add_f32 v[12:13], v[6:7], v[4:5] neg_lo:[0,1] neg_hi:[0,1]
	s_waitcnt lgkmcnt(0)
	v_pk_mul_f32 v[16:17], v[84:85], v[0:1] op_sel:[1,0]
	v_pk_fma_f32 v[14:15], v[6:7], 2.0, v[12:13] op_sel_hi:[1,0,1] neg_lo:[0,0,1] neg_hi:[0,0,1]
	ds_read2_b64 v[4:7], v132 offset0:56 offset1:212
	v_pk_fma_f32 v[18:19], v[84:85], v[0:1], v[16:17] op_sel:[0,0,1] op_sel_hi:[1,1,0]
	v_pk_fma_f32 v[0:1], v[84:85], v[0:1], v[16:17] op_sel:[0,0,1] op_sel_hi:[0,1,0] neg_lo:[0,0,1] neg_hi:[0,0,1]
	v_mov_b32_e32 v19, v1
	v_pk_mul_f32 v[0:1], v[88:89], v[2:3]
	s_waitcnt lgkmcnt(0)
	v_pk_add_f32 v[16:17], v[4:5], v[18:19] neg_lo:[0,1] neg_hi:[0,1]
	v_pk_fma_f32 v[20:21], v[100:101], v[2:3], v[0:1] op_sel:[0,0,1] op_sel_hi:[1,1,0] neg_lo:[0,0,1] neg_hi:[0,0,1]
	v_pk_fma_f32 v[18:19], v[4:5], 2.0, v[16:17] op_sel_hi:[1,0,1] neg_lo:[0,0,1] neg_hi:[0,0,1]
	v_pk_fma_f32 v[4:5], v[100:101], v[2:3], v[0:1] op_sel:[0,0,1] op_sel_hi:[1,1,0]
	ds_read2_b64 v[0:3], v133 offset0:24 offset1:180
	v_mov_b32_e32 v5, v21
	v_pk_add_f32 v[20:21], v[6:7], v[4:5] neg_lo:[0,1] neg_hi:[0,1]
	s_waitcnt lgkmcnt(0)
	v_pk_mul_f32 v[24:25], v[94:95], v[0:1]
	v_pk_fma_f32 v[22:23], v[6:7], 2.0, v[20:21] op_sel_hi:[1,0,1] neg_lo:[0,0,1] neg_hi:[0,0,1]
	ds_read2_b64 v[4:7], v124 offset0:48 offset1:204
	v_pk_fma_f32 v[26:27], v[98:99], v[0:1], v[24:25] op_sel:[0,0,1] op_sel_hi:[1,1,0]
	v_pk_fma_f32 v[0:1], v[98:99], v[0:1], v[24:25] op_sel:[0,0,1] op_sel_hi:[1,1,0] neg_lo:[0,0,1] neg_hi:[0,0,1]
	v_pk_mul_f32 v[24:25], v[90:91], v[2:3]
	v_mov_b32_e32 v27, v1
	s_waitcnt lgkmcnt(0)
	v_pk_add_f32 v[0:1], v[4:5], v[26:27] neg_lo:[0,1] neg_hi:[0,1]
	v_pk_fma_f32 v[26:27], v[96:97], v[2:3], v[24:25] op_sel:[0,0,1] op_sel_hi:[1,1,0]
	v_pk_fma_f32 v[2:3], v[96:97], v[2:3], v[24:25] op_sel:[0,0,1] op_sel_hi:[1,1,0] neg_lo:[0,0,1] neg_hi:[0,0,1]
	v_pk_fma_f32 v[4:5], v[4:5], 2.0, v[0:1] op_sel_hi:[1,0,1] neg_lo:[0,0,1] neg_hi:[0,0,1]
	v_mov_b32_e32 v27, v3
	v_pk_add_f32 v[2:3], v[6:7], v[26:27] neg_lo:[0,1] neg_hi:[0,1]
	s_nop 0
	v_pk_fma_f32 v[6:7], v[6:7], 2.0, v[2:3] op_sel_hi:[1,0,1] neg_lo:[0,0,1] neg_hi:[0,0,1]
	ds_write2_b64 v61, v[10:11], v[14:15] offset1:156
	ds_write2_b64 v65, v[8:9], v[12:13] offset0:40 offset1:196
	ds_write2_b64 v132, v[18:19], v[22:23] offset0:56 offset1:212
	;; [unrolled: 1-line block ×5, first 2 shown]
	s_waitcnt lgkmcnt(0)
	s_barrier
	s_and_b64 exec, exec, s[2:3]
	s_cbranch_execz .LBB0_15
; %bb.14:
	global_load_dwordx2 v[8:9], v64, s[8:9]
	global_load_dwordx2 v[10:11], v64, s[8:9] offset:1152
	global_load_dwordx2 v[12:13], v64, s[8:9] offset:2304
	;; [unrolled: 1-line block ×3, first 2 shown]
	v_mov_b32_e32 v65, 0
	s_movk_i32 s2, 0x1000
	v_lshl_add_u64 v[22:23], s[8:9], 0, v[64:65]
	v_add_co_u32_e32 v24, vcc, s2, v22
	v_add_u32_e32 v0, 0x400, v63
	s_nop 0
	v_addc_co_u32_e32 v25, vcc, 0, v23, vcc
	global_load_dwordx2 v[26:27], v[24:25], off offset:512
	v_add_u32_e32 v4, 0xc00, v63
	ds_read_b64 v[20:21], v61
	ds_read2_b64 v[0:3], v0 offset0:16 offset1:160
	ds_read2_b64 v[4:7], v4 offset0:48 offset1:192
	global_load_dwordx2 v[34:35], v[24:25], off offset:1664
	v_mad_u64_u32 v[18:19], s[0:1], s6, v62, 0
	v_mad_u64_u32 v[28:29], s[2:3], s4, v60, 0
	v_mov_b32_e32 v30, v19
	v_mov_b32_e32 v32, v29
	v_mad_u64_u32 v[30:31], s[6:7], s7, v62, v[30:31]
	v_mad_u64_u32 v[32:33], s[6:7], s5, v60, v[32:33]
	v_mov_b32_e32 v19, v30
	v_mov_b32_e32 v29, v32
	global_load_dwordx2 v[30:31], v[24:25], off offset:2816
	global_load_dwordx2 v[32:33], v[24:25], off offset:3968
	v_mov_b32_e32 v16, s12
	v_mov_b32_e32 v17, s13
	v_lshl_add_u64 v[16:17], v[18:19], 3, v[16:17]
	v_lshl_add_u64 v[16:17], v[28:29], 3, v[16:17]
	s_mov_b32 s0, 0x11811812
	v_mov_b32_e32 v38, 0x480
	s_mov_b32 s1, 0x3f418118
	s_mul_i32 s2, s5, 0x480
	v_mad_u64_u32 v[18:19], s[6:7], s4, v38, v[16:17]
	s_movk_i32 s3, 0x2000
	v_add_u32_e32 v19, s2, v19
	v_add_co_u32_e32 v36, vcc, s3, v22
	v_mad_u64_u32 v[24:25], s[6:7], s4, v38, v[18:19]
	s_nop 0
	v_addc_co_u32_e32 v37, vcc, 0, v23, vcc
	v_add_u32_e32 v25, s2, v25
	s_waitcnt vmcnt(7) lgkmcnt(2)
	v_mul_f32_e32 v28, v21, v9
	v_mul_f32_e32 v9, v20, v9
	s_waitcnt vmcnt(6) lgkmcnt(1)
	v_mul_f32_e32 v29, v1, v11
	v_mul_f32_e32 v11, v0, v11
	s_waitcnt vmcnt(5)
	v_mul_f32_e32 v39, v3, v13
	v_mul_f32_e32 v13, v2, v13
	v_fmac_f32_e32 v28, v20, v8
	v_fma_f32 v8, v8, v21, -v9
	v_fmac_f32_e32 v29, v0, v10
	v_fma_f32 v10, v10, v1, -v11
	;; [unrolled: 2-line block ×3, first 2 shown]
	v_cvt_f64_f32_e32 v[0:1], v28
	v_cvt_f64_f32_e32 v[2:3], v8
	;; [unrolled: 1-line block ×6, first 2 shown]
	v_mul_f64 v[0:1], v[0:1], s[0:1]
	v_mul_f64 v[2:3], v[2:3], s[0:1]
	;; [unrolled: 1-line block ×6, first 2 shown]
	v_cvt_f32_f64_e32 v0, v[0:1]
	v_cvt_f32_f64_e32 v1, v[2:3]
	;; [unrolled: 1-line block ×6, first 2 shown]
	global_store_dwordx2 v[16:17], v[0:1], off
	global_store_dwordx2 v[18:19], v[2:3], off
	global_store_dwordx2 v[24:25], v[8:9], off
	global_load_dwordx2 v[8:9], v[36:37], off offset:1024
	s_waitcnt vmcnt(8) lgkmcnt(0)
	v_mul_f32_e32 v40, v5, v15
	global_load_dwordx2 v[10:11], v[36:37], off offset:2176
	v_fmac_f32_e32 v40, v4, v14
	v_cvt_f64_f32_e32 v[0:1], v40
	v_mul_f64 v[0:1], v[0:1], s[0:1]
	v_cvt_f32_f64_e32 v0, v[0:1]
	v_mul_f32_e32 v1, v4, v15
	v_fma_f32 v1, v14, v5, -v1
	v_cvt_f64_f32_e32 v[2:3], v1
	v_mul_f64 v[2:3], v[2:3], s[0:1]
	v_mad_u64_u32 v[4:5], s[6:7], s4, v38, v[24:25]
	v_cvt_f32_f64_e32 v1, v[2:3]
	v_add_u32_e32 v5, s2, v5
	global_store_dwordx2 v[4:5], v[0:1], off
	s_waitcnt vmcnt(9)
	v_mul_f32_e32 v0, v7, v27
	v_fmac_f32_e32 v0, v6, v26
	v_cvt_f64_f32_e32 v[0:1], v0
	v_mul_f64 v[0:1], v[0:1], s[0:1]
	v_cvt_f32_f64_e32 v12, v[0:1]
	v_mul_f32_e32 v0, v6, v27
	v_fma_f32 v0, v26, v7, -v0
	global_load_dwordx2 v[6:7], v[36:37], off offset:3328
	v_add_co_u32_e32 v14, vcc, s10, v22
	v_cvt_f64_f32_e32 v[0:1], v0
	s_nop 0
	v_addc_co_u32_e32 v15, vcc, 0, v23, vcc
	global_load_dwordx2 v[16:17], v[14:15], off offset:384
	v_mul_f64 v[0:1], v[0:1], s[0:1]
	v_cvt_f32_f64_e32 v13, v[0:1]
	v_add_u32_e32 v0, 0x1400, v63
	ds_read2_b64 v[0:3], v0 offset0:80 offset1:224
	v_mad_u64_u32 v[4:5], s[6:7], s4, v38, v[4:5]
	v_add_u32_e32 v5, s2, v5
	global_store_dwordx2 v[4:5], v[12:13], off
	s_waitcnt vmcnt(11) lgkmcnt(0)
	v_mul_f32_e32 v12, v1, v35
	v_fmac_f32_e32 v12, v0, v34
	v_mul_f32_e32 v0, v0, v35
	v_fma_f32 v0, v34, v1, -v0
	v_cvt_f64_f32_e32 v[12:13], v12
	v_cvt_f64_f32_e32 v[0:1], v0
	v_mul_f64 v[12:13], v[12:13], s[0:1]
	v_mul_f64 v[0:1], v[0:1], s[0:1]
	v_cvt_f32_f64_e32 v12, v[12:13]
	v_cvt_f32_f64_e32 v13, v[0:1]
	s_waitcnt vmcnt(10)
	v_mul_f32_e32 v0, v3, v31
	v_fmac_f32_e32 v0, v2, v30
	v_mad_u64_u32 v[4:5], s[6:7], s4, v38, v[4:5]
	v_cvt_f64_f32_e32 v[0:1], v0
	v_add_u32_e32 v5, s2, v5
	v_mul_f64 v[0:1], v[0:1], s[0:1]
	global_store_dwordx2 v[4:5], v[12:13], off
	v_cvt_f32_f64_e32 v12, v[0:1]
	v_mul_f32_e32 v0, v2, v31
	v_fma_f32 v0, v30, v3, -v0
	v_cvt_f64_f32_e32 v[0:1], v0
	v_mul_f64 v[0:1], v[0:1], s[0:1]
	v_cvt_f32_f64_e32 v13, v[0:1]
	v_add_u32_e32 v0, 0x1e00, v63
	ds_read2_b64 v[0:3], v0 offset0:48 offset1:192
	v_mad_u64_u32 v[4:5], s[6:7], s4, v38, v[4:5]
	v_add_u32_e32 v5, s2, v5
	global_store_dwordx2 v[4:5], v[12:13], off
	s_waitcnt vmcnt(11) lgkmcnt(0)
	v_mul_f32_e32 v12, v1, v33
	v_fmac_f32_e32 v12, v0, v32
	v_mul_f32_e32 v0, v0, v33
	v_fma_f32 v0, v32, v1, -v0
	v_cvt_f64_f32_e32 v[12:13], v12
	v_cvt_f64_f32_e32 v[0:1], v0
	v_mul_f64 v[12:13], v[12:13], s[0:1]
	v_mul_f64 v[0:1], v[0:1], s[0:1]
	v_cvt_f32_f64_e32 v12, v[12:13]
	v_cvt_f32_f64_e32 v13, v[0:1]
	v_mad_u64_u32 v[4:5], s[6:7], s4, v38, v[4:5]
	s_waitcnt vmcnt(7)
	v_mul_f32_e32 v0, v3, v9
	v_fmac_f32_e32 v0, v2, v8
	v_cvt_f64_f32_e32 v[0:1], v0
	v_add_u32_e32 v5, s2, v5
	v_mul_f64 v[0:1], v[0:1], s[0:1]
	global_store_dwordx2 v[4:5], v[12:13], off
	v_cvt_f32_f64_e32 v12, v[0:1]
	v_mul_f32_e32 v0, v2, v9
	v_fma_f32 v0, v8, v3, -v0
	v_cvt_f64_f32_e32 v[0:1], v0
	v_mul_f64 v[0:1], v[0:1], s[0:1]
	v_cvt_f32_f64_e32 v13, v[0:1]
	v_add_u32_e32 v0, 0x2800, v63
	ds_read2_b64 v[0:3], v0 offset0:16 offset1:160
	v_mad_u64_u32 v[4:5], s[6:7], s4, v38, v[4:5]
	v_add_u32_e32 v5, s2, v5
	global_store_dwordx2 v[4:5], v[12:13], off
	s_waitcnt vmcnt(8) lgkmcnt(0)
	v_mul_f32_e32 v8, v1, v11
	v_fmac_f32_e32 v8, v0, v10
	v_mul_f32_e32 v0, v0, v11
	v_fma_f32 v0, v10, v1, -v0
	v_cvt_f64_f32_e32 v[8:9], v8
	v_cvt_f64_f32_e32 v[0:1], v0
	v_mul_f64 v[8:9], v[8:9], s[0:1]
	v_mul_f64 v[0:1], v[0:1], s[0:1]
	v_cvt_f32_f64_e32 v8, v[8:9]
	v_cvt_f32_f64_e32 v9, v[0:1]
	s_waitcnt vmcnt(6)
	v_mul_f32_e32 v0, v3, v7
	v_fmac_f32_e32 v0, v2, v6
	v_mad_u64_u32 v[4:5], s[6:7], s4, v38, v[4:5]
	v_cvt_f64_f32_e32 v[0:1], v0
	v_add_u32_e32 v5, s2, v5
	v_mul_f64 v[0:1], v[0:1], s[0:1]
	global_store_dwordx2 v[4:5], v[8:9], off
	v_cvt_f32_f64_e32 v8, v[0:1]
	v_mul_f32_e32 v0, v2, v7
	v_fma_f32 v0, v6, v3, -v0
	v_cvt_f64_f32_e32 v[0:1], v0
	v_mul_f64 v[0:1], v[0:1], s[0:1]
	v_cvt_f32_f64_e32 v9, v[0:1]
	v_add_u32_e32 v0, 0x3000, v63
	ds_read2_b64 v[0:3], v0 offset0:48 offset1:192
	v_mad_u64_u32 v[4:5], s[6:7], s4, v38, v[4:5]
	v_add_u32_e32 v5, s2, v5
	global_store_dwordx2 v[4:5], v[8:9], off
	s_waitcnt vmcnt(7) lgkmcnt(0)
	v_mul_f32_e32 v6, v1, v17
	v_fmac_f32_e32 v6, v0, v16
	v_mul_f32_e32 v0, v0, v17
	v_fma_f32 v0, v16, v1, -v0
	v_cvt_f64_f32_e32 v[6:7], v6
	v_cvt_f64_f32_e32 v[0:1], v0
	v_mul_f64 v[6:7], v[6:7], s[0:1]
	v_mul_f64 v[0:1], v[0:1], s[0:1]
	v_cvt_f32_f64_e32 v6, v[6:7]
	v_cvt_f32_f64_e32 v7, v[0:1]
	v_mad_u64_u32 v[0:1], s[6:7], s4, v38, v[4:5]
	v_add_u32_e32 v1, s2, v1
	global_store_dwordx2 v[0:1], v[6:7], off
	global_load_dwordx2 v[4:5], v[14:15], off offset:1536
	s_waitcnt vmcnt(0)
	v_mul_f32_e32 v6, v3, v5
	v_fmac_f32_e32 v6, v2, v4
	v_mul_f32_e32 v2, v2, v5
	v_fma_f32 v2, v4, v3, -v2
	v_cvt_f64_f32_e32 v[6:7], v6
	v_cvt_f64_f32_e32 v[2:3], v2
	v_mul_f64 v[6:7], v[6:7], s[0:1]
	v_mul_f64 v[2:3], v[2:3], s[0:1]
	v_mad_u64_u32 v[0:1], s[0:1], s4, v38, v[0:1]
	v_cvt_f32_f64_e32 v6, v[6:7]
	v_cvt_f32_f64_e32 v7, v[2:3]
	v_add_u32_e32 v1, s2, v1
	global_store_dwordx2 v[0:1], v[6:7], off
.LBB0_15:
	s_endpgm
	.section	.rodata,"a",@progbits
	.p2align	6, 0x0
	.amdhsa_kernel bluestein_single_back_len1872_dim1_sp_op_CI_CI
		.amdhsa_group_segment_fixed_size 14976
		.amdhsa_private_segment_fixed_size 0
		.amdhsa_kernarg_size 104
		.amdhsa_user_sgpr_count 2
		.amdhsa_user_sgpr_dispatch_ptr 0
		.amdhsa_user_sgpr_queue_ptr 0
		.amdhsa_user_sgpr_kernarg_segment_ptr 1
		.amdhsa_user_sgpr_dispatch_id 0
		.amdhsa_user_sgpr_kernarg_preload_length 0
		.amdhsa_user_sgpr_kernarg_preload_offset 0
		.amdhsa_user_sgpr_private_segment_size 0
		.amdhsa_uses_dynamic_stack 0
		.amdhsa_enable_private_segment 0
		.amdhsa_system_sgpr_workgroup_id_x 1
		.amdhsa_system_sgpr_workgroup_id_y 0
		.amdhsa_system_sgpr_workgroup_id_z 0
		.amdhsa_system_sgpr_workgroup_info 0
		.amdhsa_system_vgpr_workitem_id 0
		.amdhsa_next_free_vgpr 260
		.amdhsa_next_free_sgpr 44
		.amdhsa_accum_offset 256
		.amdhsa_reserve_vcc 1
		.amdhsa_float_round_mode_32 0
		.amdhsa_float_round_mode_16_64 0
		.amdhsa_float_denorm_mode_32 3
		.amdhsa_float_denorm_mode_16_64 3
		.amdhsa_dx10_clamp 1
		.amdhsa_ieee_mode 1
		.amdhsa_fp16_overflow 0
		.amdhsa_tg_split 0
		.amdhsa_exception_fp_ieee_invalid_op 0
		.amdhsa_exception_fp_denorm_src 0
		.amdhsa_exception_fp_ieee_div_zero 0
		.amdhsa_exception_fp_ieee_overflow 0
		.amdhsa_exception_fp_ieee_underflow 0
		.amdhsa_exception_fp_ieee_inexact 0
		.amdhsa_exception_int_div_zero 0
	.end_amdhsa_kernel
	.text
.Lfunc_end0:
	.size	bluestein_single_back_len1872_dim1_sp_op_CI_CI, .Lfunc_end0-bluestein_single_back_len1872_dim1_sp_op_CI_CI
                                        ; -- End function
	.section	.AMDGPU.csdata,"",@progbits
; Kernel info:
; codeLenInByte = 14456
; NumSgprs: 50
; NumVgprs: 256
; NumAgprs: 4
; TotalNumVgprs: 260
; ScratchSize: 0
; MemoryBound: 0
; FloatMode: 240
; IeeeMode: 1
; LDSByteSize: 14976 bytes/workgroup (compile time only)
; SGPRBlocks: 6
; VGPRBlocks: 32
; NumSGPRsForWavesPerEU: 50
; NumVGPRsForWavesPerEU: 260
; AccumOffset: 256
; Occupancy: 1
; WaveLimiterHint : 1
; COMPUTE_PGM_RSRC2:SCRATCH_EN: 0
; COMPUTE_PGM_RSRC2:USER_SGPR: 2
; COMPUTE_PGM_RSRC2:TRAP_HANDLER: 0
; COMPUTE_PGM_RSRC2:TGID_X_EN: 1
; COMPUTE_PGM_RSRC2:TGID_Y_EN: 0
; COMPUTE_PGM_RSRC2:TGID_Z_EN: 0
; COMPUTE_PGM_RSRC2:TIDIG_COMP_CNT: 0
; COMPUTE_PGM_RSRC3_GFX90A:ACCUM_OFFSET: 63
; COMPUTE_PGM_RSRC3_GFX90A:TG_SPLIT: 0
	.text
	.p2alignl 6, 3212836864
	.fill 256, 4, 3212836864
	.type	__hip_cuid_ca6d5bf2f336d8c2,@object ; @__hip_cuid_ca6d5bf2f336d8c2
	.section	.bss,"aw",@nobits
	.globl	__hip_cuid_ca6d5bf2f336d8c2
__hip_cuid_ca6d5bf2f336d8c2:
	.byte	0                               ; 0x0
	.size	__hip_cuid_ca6d5bf2f336d8c2, 1

	.ident	"AMD clang version 19.0.0git (https://github.com/RadeonOpenCompute/llvm-project roc-6.4.0 25133 c7fe45cf4b819c5991fe208aaa96edf142730f1d)"
	.section	".note.GNU-stack","",@progbits
	.addrsig
	.addrsig_sym __hip_cuid_ca6d5bf2f336d8c2
	.amdgpu_metadata
---
amdhsa.kernels:
  - .agpr_count:     4
    .args:
      - .actual_access:  read_only
        .address_space:  global
        .offset:         0
        .size:           8
        .value_kind:     global_buffer
      - .actual_access:  read_only
        .address_space:  global
        .offset:         8
        .size:           8
        .value_kind:     global_buffer
      - .actual_access:  read_only
        .address_space:  global
        .offset:         16
        .size:           8
        .value_kind:     global_buffer
      - .actual_access:  read_only
        .address_space:  global
        .offset:         24
        .size:           8
        .value_kind:     global_buffer
      - .actual_access:  read_only
        .address_space:  global
        .offset:         32
        .size:           8
        .value_kind:     global_buffer
      - .offset:         40
        .size:           8
        .value_kind:     by_value
      - .address_space:  global
        .offset:         48
        .size:           8
        .value_kind:     global_buffer
      - .address_space:  global
        .offset:         56
        .size:           8
        .value_kind:     global_buffer
      - .address_space:  global
        .offset:         64
        .size:           8
        .value_kind:     global_buffer
      - .address_space:  global
        .offset:         72
        .size:           8
        .value_kind:     global_buffer
      - .offset:         80
        .size:           4
        .value_kind:     by_value
      - .address_space:  global
        .offset:         88
        .size:           8
        .value_kind:     global_buffer
      - .address_space:  global
        .offset:         96
        .size:           8
        .value_kind:     global_buffer
    .group_segment_fixed_size: 14976
    .kernarg_segment_align: 8
    .kernarg_segment_size: 104
    .language:       OpenCL C
    .language_version:
      - 2
      - 0
    .max_flat_workgroup_size: 156
    .name:           bluestein_single_back_len1872_dim1_sp_op_CI_CI
    .private_segment_fixed_size: 0
    .sgpr_count:     50
    .sgpr_spill_count: 0
    .symbol:         bluestein_single_back_len1872_dim1_sp_op_CI_CI.kd
    .uniform_work_group_size: 1
    .uses_dynamic_stack: false
    .vgpr_count:     260
    .vgpr_spill_count: 0
    .wavefront_size: 64
amdhsa.target:   amdgcn-amd-amdhsa--gfx950
amdhsa.version:
  - 1
  - 2
...

	.end_amdgpu_metadata
